;; amdgpu-corpus repo=ROCm/rocFFT kind=compiled arch=gfx1030 opt=O3
	.text
	.amdgcn_target "amdgcn-amd-amdhsa--gfx1030"
	.amdhsa_code_object_version 6
	.protected	fft_rtc_fwd_len320_factors_10_4_4_2_wgs_64_tpt_16_halfLds_dp_ip_CI_unitstride_sbrr_R2C_dirReg ; -- Begin function fft_rtc_fwd_len320_factors_10_4_4_2_wgs_64_tpt_16_halfLds_dp_ip_CI_unitstride_sbrr_R2C_dirReg
	.globl	fft_rtc_fwd_len320_factors_10_4_4_2_wgs_64_tpt_16_halfLds_dp_ip_CI_unitstride_sbrr_R2C_dirReg
	.p2align	8
	.type	fft_rtc_fwd_len320_factors_10_4_4_2_wgs_64_tpt_16_halfLds_dp_ip_CI_unitstride_sbrr_R2C_dirReg,@function
fft_rtc_fwd_len320_factors_10_4_4_2_wgs_64_tpt_16_halfLds_dp_ip_CI_unitstride_sbrr_R2C_dirReg: ; @fft_rtc_fwd_len320_factors_10_4_4_2_wgs_64_tpt_16_halfLds_dp_ip_CI_unitstride_sbrr_R2C_dirReg
; %bb.0:
	s_clause 0x2
	s_load_dwordx4 s[8:11], s[4:5], 0x0
	s_load_dwordx2 s[2:3], s[4:5], 0x50
	s_load_dwordx2 s[12:13], s[4:5], 0x18
	v_lshrrev_b32_e32 v9, 4, v0
	v_mov_b32_e32 v3, 0
	v_mov_b32_e32 v1, 0
	;; [unrolled: 1-line block ×3, first 2 shown]
	v_lshl_or_b32 v5, s6, 2, v9
	v_mov_b32_e32 v6, v3
	s_waitcnt lgkmcnt(0)
	v_cmp_lt_u64_e64 s0, s[10:11], 2
	s_and_b32 vcc_lo, exec_lo, s0
	s_cbranch_vccnz .LBB0_8
; %bb.1:
	s_load_dwordx2 s[0:1], s[4:5], 0x10
	v_mov_b32_e32 v1, 0
	s_add_u32 s6, s12, 8
	v_mov_b32_e32 v2, 0
	s_addc_u32 s7, s13, 0
	s_mov_b64 s[16:17], 1
	s_waitcnt lgkmcnt(0)
	s_add_u32 s14, s0, 8
	s_addc_u32 s15, s1, 0
.LBB0_2:                                ; =>This Inner Loop Header: Depth=1
	s_load_dwordx2 s[18:19], s[14:15], 0x0
                                        ; implicit-def: $vgpr7_vgpr8
	s_mov_b32 s0, exec_lo
	s_waitcnt lgkmcnt(0)
	v_or_b32_e32 v4, s19, v6
	v_cmpx_ne_u64_e32 0, v[3:4]
	s_xor_b32 s1, exec_lo, s0
	s_cbranch_execz .LBB0_4
; %bb.3:                                ;   in Loop: Header=BB0_2 Depth=1
	v_cvt_f32_u32_e32 v4, s18
	v_cvt_f32_u32_e32 v7, s19
	s_sub_u32 s0, 0, s18
	s_subb_u32 s20, 0, s19
	v_fmac_f32_e32 v4, 0x4f800000, v7
	v_rcp_f32_e32 v4, v4
	v_mul_f32_e32 v4, 0x5f7ffffc, v4
	v_mul_f32_e32 v7, 0x2f800000, v4
	v_trunc_f32_e32 v7, v7
	v_fmac_f32_e32 v4, 0xcf800000, v7
	v_cvt_u32_f32_e32 v7, v7
	v_cvt_u32_f32_e32 v4, v4
	v_mul_lo_u32 v8, s0, v7
	v_mul_hi_u32 v10, s0, v4
	v_mul_lo_u32 v11, s20, v4
	v_add_nc_u32_e32 v8, v10, v8
	v_mul_lo_u32 v10, s0, v4
	v_add_nc_u32_e32 v8, v8, v11
	v_mul_hi_u32 v11, v4, v10
	v_mul_lo_u32 v12, v4, v8
	v_mul_hi_u32 v13, v4, v8
	v_mul_hi_u32 v14, v7, v10
	v_mul_lo_u32 v10, v7, v10
	v_mul_hi_u32 v15, v7, v8
	v_mul_lo_u32 v8, v7, v8
	v_add_co_u32 v11, vcc_lo, v11, v12
	v_add_co_ci_u32_e32 v12, vcc_lo, 0, v13, vcc_lo
	v_add_co_u32 v10, vcc_lo, v11, v10
	v_add_co_ci_u32_e32 v10, vcc_lo, v12, v14, vcc_lo
	v_add_co_ci_u32_e32 v11, vcc_lo, 0, v15, vcc_lo
	v_add_co_u32 v8, vcc_lo, v10, v8
	v_add_co_ci_u32_e32 v10, vcc_lo, 0, v11, vcc_lo
	v_add_co_u32 v4, vcc_lo, v4, v8
	v_add_co_ci_u32_e32 v7, vcc_lo, v7, v10, vcc_lo
	v_mul_hi_u32 v8, s0, v4
	v_mul_lo_u32 v11, s20, v4
	v_mul_lo_u32 v10, s0, v7
	v_add_nc_u32_e32 v8, v8, v10
	v_mul_lo_u32 v10, s0, v4
	v_add_nc_u32_e32 v8, v8, v11
	v_mul_hi_u32 v11, v4, v10
	v_mul_lo_u32 v12, v4, v8
	v_mul_hi_u32 v13, v4, v8
	v_mul_hi_u32 v14, v7, v10
	v_mul_lo_u32 v10, v7, v10
	v_mul_hi_u32 v15, v7, v8
	v_mul_lo_u32 v8, v7, v8
	v_add_co_u32 v11, vcc_lo, v11, v12
	v_add_co_ci_u32_e32 v12, vcc_lo, 0, v13, vcc_lo
	v_add_co_u32 v10, vcc_lo, v11, v10
	v_add_co_ci_u32_e32 v10, vcc_lo, v12, v14, vcc_lo
	v_add_co_ci_u32_e32 v11, vcc_lo, 0, v15, vcc_lo
	v_add_co_u32 v8, vcc_lo, v10, v8
	v_add_co_ci_u32_e32 v10, vcc_lo, 0, v11, vcc_lo
	v_add_co_u32 v4, vcc_lo, v4, v8
	v_add_co_ci_u32_e32 v12, vcc_lo, v7, v10, vcc_lo
	v_mul_hi_u32 v14, v5, v4
	v_mad_u64_u32 v[10:11], null, v6, v4, 0
	v_mad_u64_u32 v[7:8], null, v5, v12, 0
	;; [unrolled: 1-line block ×3, first 2 shown]
	v_add_co_u32 v4, vcc_lo, v14, v7
	v_add_co_ci_u32_e32 v7, vcc_lo, 0, v8, vcc_lo
	v_add_co_u32 v4, vcc_lo, v4, v10
	v_add_co_ci_u32_e32 v4, vcc_lo, v7, v11, vcc_lo
	v_add_co_ci_u32_e32 v7, vcc_lo, 0, v13, vcc_lo
	v_add_co_u32 v4, vcc_lo, v4, v12
	v_add_co_ci_u32_e32 v10, vcc_lo, 0, v7, vcc_lo
	v_mul_lo_u32 v11, s19, v4
	v_mad_u64_u32 v[7:8], null, s18, v4, 0
	v_mul_lo_u32 v12, s18, v10
	v_sub_co_u32 v7, vcc_lo, v5, v7
	v_add3_u32 v8, v8, v12, v11
	v_sub_nc_u32_e32 v11, v6, v8
	v_subrev_co_ci_u32_e64 v11, s0, s19, v11, vcc_lo
	v_add_co_u32 v12, s0, v4, 2
	v_add_co_ci_u32_e64 v13, s0, 0, v10, s0
	v_sub_co_u32 v14, s0, v7, s18
	v_sub_co_ci_u32_e32 v8, vcc_lo, v6, v8, vcc_lo
	v_subrev_co_ci_u32_e64 v11, s0, 0, v11, s0
	v_cmp_le_u32_e32 vcc_lo, s18, v14
	v_cmp_eq_u32_e64 s0, s19, v8
	v_cndmask_b32_e64 v14, 0, -1, vcc_lo
	v_cmp_le_u32_e32 vcc_lo, s19, v11
	v_cndmask_b32_e64 v15, 0, -1, vcc_lo
	v_cmp_le_u32_e32 vcc_lo, s18, v7
	;; [unrolled: 2-line block ×3, first 2 shown]
	v_cndmask_b32_e64 v16, 0, -1, vcc_lo
	v_cmp_eq_u32_e32 vcc_lo, s19, v11
	v_cndmask_b32_e64 v7, v16, v7, s0
	v_cndmask_b32_e32 v11, v15, v14, vcc_lo
	v_add_co_u32 v14, vcc_lo, v4, 1
	v_add_co_ci_u32_e32 v15, vcc_lo, 0, v10, vcc_lo
	v_cmp_ne_u32_e32 vcc_lo, 0, v11
	v_cndmask_b32_e32 v8, v15, v13, vcc_lo
	v_cndmask_b32_e32 v11, v14, v12, vcc_lo
	v_cmp_ne_u32_e32 vcc_lo, 0, v7
	v_cndmask_b32_e32 v8, v10, v8, vcc_lo
	v_cndmask_b32_e32 v7, v4, v11, vcc_lo
.LBB0_4:                                ;   in Loop: Header=BB0_2 Depth=1
	s_andn2_saveexec_b32 s0, s1
	s_cbranch_execz .LBB0_6
; %bb.5:                                ;   in Loop: Header=BB0_2 Depth=1
	v_cvt_f32_u32_e32 v4, s18
	s_sub_i32 s1, 0, s18
	v_rcp_iflag_f32_e32 v4, v4
	v_mul_f32_e32 v4, 0x4f7ffffe, v4
	v_cvt_u32_f32_e32 v4, v4
	v_mul_lo_u32 v7, s1, v4
	v_mul_hi_u32 v7, v4, v7
	v_add_nc_u32_e32 v4, v4, v7
	v_mul_hi_u32 v4, v5, v4
	v_mul_lo_u32 v7, v4, s18
	v_add_nc_u32_e32 v8, 1, v4
	v_sub_nc_u32_e32 v7, v5, v7
	v_subrev_nc_u32_e32 v10, s18, v7
	v_cmp_le_u32_e32 vcc_lo, s18, v7
	v_cndmask_b32_e32 v7, v7, v10, vcc_lo
	v_cndmask_b32_e32 v4, v4, v8, vcc_lo
	v_cmp_le_u32_e32 vcc_lo, s18, v7
	v_add_nc_u32_e32 v8, 1, v4
	v_cndmask_b32_e32 v7, v4, v8, vcc_lo
	v_mov_b32_e32 v8, v3
.LBB0_6:                                ;   in Loop: Header=BB0_2 Depth=1
	s_or_b32 exec_lo, exec_lo, s0
	s_load_dwordx2 s[0:1], s[6:7], 0x0
	v_mul_lo_u32 v4, v8, s18
	v_mul_lo_u32 v12, v7, s19
	v_mad_u64_u32 v[10:11], null, v7, s18, 0
	s_add_u32 s16, s16, 1
	s_addc_u32 s17, s17, 0
	s_add_u32 s6, s6, 8
	s_addc_u32 s7, s7, 0
	;; [unrolled: 2-line block ×3, first 2 shown]
	v_add3_u32 v4, v11, v12, v4
	v_sub_co_u32 v5, vcc_lo, v5, v10
	v_sub_co_ci_u32_e32 v4, vcc_lo, v6, v4, vcc_lo
	s_waitcnt lgkmcnt(0)
	v_mul_lo_u32 v6, s1, v5
	v_mul_lo_u32 v4, s0, v4
	v_mad_u64_u32 v[1:2], null, s0, v5, v[1:2]
	v_cmp_ge_u64_e64 s0, s[16:17], s[10:11]
	s_and_b32 vcc_lo, exec_lo, s0
	v_add3_u32 v2, v6, v2, v4
	s_cbranch_vccnz .LBB0_9
; %bb.7:                                ;   in Loop: Header=BB0_2 Depth=1
	v_mov_b32_e32 v5, v7
	v_mov_b32_e32 v6, v8
	s_branch .LBB0_2
.LBB0_8:
	v_mov_b32_e32 v8, v6
	v_mov_b32_e32 v7, v5
.LBB0_9:
	s_lshl_b64 s[0:1], s[10:11], 3
	v_and_b32_e32 v76, 15, v0
	s_add_u32 s0, s12, s0
	s_addc_u32 s1, s13, s1
	s_load_dwordx2 s[0:1], s[0:1], 0x0
	s_load_dwordx2 s[4:5], s[4:5], 0x20
	v_or_b32_e32 v80, 16, v76
	v_or_b32_e32 v82, 0x50, v76
	;; [unrolled: 1-line block ×9, first 2 shown]
	s_waitcnt lgkmcnt(0)
	v_mul_lo_u32 v3, s0, v8
	v_mul_lo_u32 v4, s1, v7
	v_mad_u64_u32 v[0:1], null, s0, v7, v[1:2]
	v_cmp_gt_u64_e32 vcc_lo, s[4:5], v[7:8]
	v_cmp_le_u64_e64 s0, s[4:5], v[7:8]
	v_add3_u32 v1, v4, v1, v3
	s_and_saveexec_b32 s1, s0
	s_xor_b32 s0, exec_lo, s1
	s_cbranch_execz .LBB0_11
; %bb.10:
	v_mov_b32_e32 v77, 0
	v_or_b32_e32 v80, 16, v76
	v_or_b32_e32 v82, 0x50, v76
	;; [unrolled: 1-line block ×9, first 2 shown]
	v_mov_b32_e32 v81, v77
	v_mov_b32_e32 v87, v77
	;; [unrolled: 1-line block ×9, first 2 shown]
.LBB0_11:
	s_or_saveexec_b32 s1, s0
	v_mul_u32_u24_e32 v2, 0x141, v9
	v_lshlrev_b64 v[78:79], 4, v[0:1]
	v_lshlrev_b32_e32 v100, 4, v76
	v_lshlrev_b32_e32 v104, 4, v2
	s_xor_b32 exec_lo, exec_lo, s1
	s_cbranch_execz .LBB0_13
; %bb.12:
	v_add_co_u32 v42, s0, s2, v78
	v_add_co_ci_u32_e64 v43, s0, s3, v79, s0
	v_lshlrev_b32_e32 v32, 4, v92
	v_add_co_u32 v28, s0, v42, v100
	v_lshlrev_b32_e32 v34, 4, v90
	v_add_co_ci_u32_e64 v29, s0, 0, v43, s0
	v_add_co_u32 v32, s0, v42, v32
	v_or_b32_e32 v35, 0xa00, v100
	v_add_co_ci_u32_e64 v33, s0, 0, v43, s0
	v_add_co_u32 v36, s0, v42, v34
	v_or_b32_e32 v38, 0xb00, v100
	;; [unrolled: 3-line block ×10, first 2 shown]
	v_add_co_ci_u32_e64 v69, s0, 0, v43, s0
	v_add_co_u32 v72, s0, v42, v55
	v_add_co_ci_u32_e64 v73, s0, 0, v43, s0
	v_add_co_u32 v97, s0, v42, v58
	s_clause 0x9
	global_load_dwordx4 v[0:3], v[28:29], off
	global_load_dwordx4 v[4:7], v[28:29], off offset:256
	global_load_dwordx4 v[8:11], v[28:29], off offset:512
	;; [unrolled: 1-line block ×7, first 2 shown]
	global_load_dwordx4 v[32:35], v[32:33], off
	global_load_dwordx4 v[36:39], v[36:37], off
	v_add_co_ci_u32_e64 v98, s0, 0, v43, s0
	s_clause 0x9
	global_load_dwordx4 v[40:43], v[40:41], off
	global_load_dwordx4 v[44:47], v[44:45], off
	;; [unrolled: 1-line block ×10, first 2 shown]
	v_mov_b32_e32 v77, 0
	v_add3_u32 v98, 0, v104, v100
	s_waitcnt vmcnt(19)
	ds_write_b128 v98, v[0:3]
	s_waitcnt vmcnt(18)
	ds_write_b128 v98, v[4:7] offset:256
	s_waitcnt vmcnt(17)
	ds_write_b128 v98, v[8:11] offset:512
	;; [unrolled: 2-line block ×19, first 2 shown]
	v_mov_b32_e32 v81, v77
	v_mov_b32_e32 v87, v77
	;; [unrolled: 1-line block ×9, first 2 shown]
.LBB0_13:
	s_or_b32 exec_lo, exec_lo, s1
	v_add3_u32 v102, 0, v100, v104
	s_waitcnt lgkmcnt(0)
	s_barrier
	buffer_gl0_inv
	v_add_nc_u32_e32 v103, 0, v104
	ds_read_b128 v[8:11], v102 offset:3584
	ds_read_b128 v[12:15], v102 offset:2560
	;; [unrolled: 1-line block ×15, first 2 shown]
	s_mov_b32 s0, 0x134454ff
	s_mov_b32 s1, 0x3fee6f0e
	;; [unrolled: 1-line block ×4, first 2 shown]
	v_add_nc_u32_e32 v101, v103, v100
	ds_read_b128 v[64:67], v102 offset:2304
	s_mov_b32 s4, 0x4755a5e
	s_mov_b32 s5, 0x3fe2cf23
	;; [unrolled: 1-line block ×7, first 2 shown]
	s_waitcnt lgkmcnt(14)
	v_add_f64 v[32:33], v[12:13], v[8:9]
	v_add_f64 v[98:99], v[14:15], v[10:11]
	s_waitcnt lgkmcnt(12)
	v_add_f64 v[68:69], v[16:17], v[20:21]
	v_add_f64 v[34:35], v[18:19], v[22:23]
	v_add_f64 v[105:106], v[18:19], -v[22:23]
	v_add_f64 v[109:110], v[14:15], -v[10:11]
	;; [unrolled: 1-line block ×3, first 2 shown]
	s_waitcnt lgkmcnt(11)
	v_add_f64 v[117:118], v[38:39], v[18:19]
	v_add_f64 v[119:120], v[16:17], -v[12:13]
	v_add_f64 v[121:122], v[12:13], -v[16:17]
	;; [unrolled: 1-line block ×3, first 2 shown]
	s_waitcnt lgkmcnt(5)
	v_add_f64 v[125:126], v[40:41], v[44:45]
	s_waitcnt lgkmcnt(3)
	v_add_f64 v[127:128], v[52:53], v[48:49]
	v_add_f64 v[129:130], v[42:43], v[46:47]
	;; [unrolled: 1-line block ×3, first 2 shown]
	v_add_f64 v[133:134], v[16:17], -v[20:21]
	v_add_f64 v[18:19], v[14:15], -v[18:19]
	v_add_f64 v[135:136], v[8:9], -v[20:21]
	v_add_f64 v[137:138], v[10:11], -v[22:23]
	v_add_f64 v[139:140], v[22:23], -v[10:11]
	v_add_f64 v[145:146], v[42:43], -v[46:47]
	v_add_f64 v[147:148], v[52:53], -v[40:41]
	v_fma_f64 v[107:108], v[32:33], -0.5, v[36:37]
	v_fma_f64 v[98:99], v[98:99], -0.5, v[38:39]
	;; [unrolled: 1-line block ×4, first 2 shown]
	v_add_f64 v[36:37], v[36:37], v[16:17]
	v_add_f64 v[16:17], v[20:21], -v[8:9]
	ds_read_b128 v[68:71], v102 offset:3328
	ds_read_b128 v[32:35], v102 offset:4352
	ds_read_b128 v[72:75], v101
	v_add_f64 v[149:150], v[40:41], -v[52:53]
	v_add_f64 v[151:152], v[54:55], -v[50:51]
	v_add_f64 v[14:15], v[117:118], v[14:15]
	v_add_f64 v[117:118], v[50:51], -v[46:47]
	v_add_f64 v[157:158], v[46:47], -v[50:51]
	s_mov_b32 s15, 0x3fe9e377
	s_waitcnt lgkmcnt(3)
	v_add_f64 v[165:166], v[66:67], -v[58:59]
	v_add_f64 v[161:162], v[56:57], -v[64:65]
	;; [unrolled: 1-line block ×3, first 2 shown]
	v_add_f64 v[18:19], v[18:19], v[137:138]
	v_add_f64 v[123:124], v[123:124], v[139:140]
	v_fma_f64 v[38:39], v[105:106], s[0:1], v[107:108]
	v_fma_f64 v[143:144], v[109:110], s[12:13], v[115:116]
	;; [unrolled: 1-line block ×5, first 2 shown]
	s_waitcnt lgkmcnt(0)
	v_add_f64 v[153:154], v[72:73], v[52:53]
	v_add_f64 v[155:156], v[74:75], v[54:55]
	v_fma_f64 v[125:126], v[125:126], -0.5, v[72:73]
	v_fma_f64 v[72:73], v[127:128], -0.5, v[72:73]
	;; [unrolled: 1-line block ×4, first 2 shown]
	v_add_f64 v[129:130], v[48:49], -v[44:45]
	v_add_f64 v[131:132], v[52:53], -v[48:49]
	v_add_f64 v[119:120], v[119:120], v[16:17]
	v_fma_f64 v[16:17], v[133:134], s[12:13], v[98:99]
	v_add_f64 v[52:53], v[121:122], v[135:136]
	v_add_f64 v[121:122], v[40:41], -v[44:45]
	v_add_f64 v[12:13], v[36:37], v[12:13]
	v_add_f64 v[10:11], v[14:15], v[10:11]
	v_fma_f64 v[98:99], v[133:134], s[0:1], v[98:99]
	v_add_f64 v[167:168], v[56:57], v[32:33]
	v_fma_f64 v[38:39], v[109:110], s[4:5], v[38:39]
	v_add_f64 v[169:170], v[58:59], v[34:35]
	v_fma_f64 v[137:138], v[105:106], s[4:5], v[143:144]
	v_fma_f64 v[115:116], v[105:106], s[10:11], v[115:116]
	v_fma_f64 v[135:136], v[133:134], s[10:11], v[141:142]
	;; [unrolled: 1-line block ×3, first 2 shown]
	v_add_f64 v[141:142], v[54:55], -v[42:43]
	v_add_f64 v[54:55], v[42:43], -v[54:55]
	;; [unrolled: 1-line block ×3, first 2 shown]
	v_add_f64 v[40:41], v[153:154], v[40:41]
	v_add_f64 v[42:43], v[155:156], v[42:43]
	v_fma_f64 v[139:140], v[151:152], s[0:1], v[125:126]
	v_add_f64 v[129:130], v[147:148], v[129:130]
	v_fma_f64 v[147:148], v[131:132], s[12:13], v[127:128]
	v_fma_f64 v[155:156], v[145:146], s[12:13], v[72:73]
	;; [unrolled: 1-line block ×6, first 2 shown]
	v_add_f64 v[8:9], v[12:13], v[8:9]
	v_add_f64 v[10:11], v[10:11], v[22:23]
	v_fma_f64 v[127:128], v[131:132], s[0:1], v[127:128]
	v_fma_f64 v[153:154], v[119:120], s[6:7], v[38:39]
	ds_read_b128 v[36:39], v102 offset:256
	v_fma_f64 v[137:138], v[52:53], s[6:7], v[137:138]
	v_fma_f64 v[52:53], v[52:53], s[6:7], v[115:116]
	;; [unrolled: 1-line block ×4, first 2 shown]
	v_add_f64 v[113:114], v[141:142], v[117:118]
	v_fma_f64 v[125:126], v[151:152], s[12:13], v[125:126]
	v_add_f64 v[12:13], v[149:150], v[143:144]
	v_add_f64 v[14:15], v[40:41], v[44:45]
	;; [unrolled: 1-line block ×4, first 2 shown]
	v_fma_f64 v[44:45], v[145:146], s[4:5], v[139:140]
	v_fma_f64 v[46:47], v[121:122], s[10:11], v[147:148]
	;; [unrolled: 1-line block ×7, first 2 shown]
	v_add_f64 v[8:9], v[8:9], v[20:21]
	v_add_f64 v[131:132], v[26:27], -v[2:3]
	v_add_f64 v[157:158], v[64:65], v[68:69]
	v_mul_f64 v[54:55], v[153:154], s[14:15]
	v_mul_f64 v[115:116], v[153:154], s[10:11]
	;; [unrolled: 1-line block ×6, first 2 shown]
	s_waitcnt lgkmcnt(0)
	v_add_f64 v[153:154], v[36:37], v[56:57]
	v_add_f64 v[155:156], v[38:39], v[58:59]
	v_fma_f64 v[121:122], v[121:122], s[4:5], v[127:128]
	v_add_f64 v[14:15], v[14:15], v[48:49]
	v_add_f64 v[20:21], v[40:41], v[50:51]
	v_fma_f64 v[98:99], v[111:112], s[4:5], v[98:99]
	v_fma_f64 v[22:23], v[129:130], s[6:7], v[44:45]
	;; [unrolled: 1-line block ×3, first 2 shown]
	v_add_f64 v[111:112], v[6:7], -v[2:3]
	v_fma_f64 v[125:126], v[145:146], s[10:11], v[125:126]
	v_fma_f64 v[72:73], v[12:13], s[6:7], v[72:73]
	v_add_f64 v[159:160], v[66:67], -v[70:71]
	v_fma_f64 v[74:75], v[42:43], s[6:7], v[74:75]
	v_add_f64 v[56:57], v[56:57], -v[32:33]
	s_barrier
	v_fma_f64 v[50:51], v[16:17], s[4:5], v[54:55]
	v_fma_f64 v[54:55], v[16:17], s[14:15], v[115:116]
	;; [unrolled: 1-line block ×4, first 2 shown]
	v_fma_f64 v[139:140], v[18:19], s[0:1], -v[147:148]
	v_fma_f64 v[137:138], v[137:138], s[6:7], v[141:142]
	v_fma_f64 v[135:136], v[135:136], s[6:7], v[143:144]
	v_fma_f64 v[141:142], v[52:53], s[12:13], -v[149:150]
	v_add_f64 v[143:144], v[66:67], v[70:71]
	v_add_f64 v[40:41], v[14:15], v[8:9]
	v_add_f64 v[42:43], v[20:21], v[10:11]
	v_add_f64 v[10:11], v[20:21], -v[10:11]
	v_add_f64 v[8:9], v[14:15], -v[8:9]
	;; [unrolled: 1-line block ×5, first 2 shown]
	v_add_f64 v[64:65], v[153:154], v[64:65]
	v_add_f64 v[66:67], v[155:156], v[66:67]
	v_fma_f64 v[98:99], v[123:124], s[6:7], v[98:99]
	v_fma_f64 v[113:114], v[113:114], s[6:7], v[121:122]
	buffer_gl0_inv
	v_add_f64 v[44:45], v[22:23], v[50:51]
	v_add_f64 v[46:47], v[48:49], v[54:55]
	v_add_f64 v[16:17], v[22:23], -v[50:51]
	v_add_f64 v[18:19], v[48:49], -v[54:55]
	v_add_f64 v[52:53], v[72:73], v[139:140]
	v_add_f64 v[20:21], v[72:73], -v[139:140]
	v_add_f64 v[72:73], v[28:29], v[4:5]
	v_add_f64 v[48:49], v[115:116], v[137:138]
	;; [unrolled: 1-line block ×3, first 2 shown]
	v_add_f64 v[12:13], v[115:116], -v[137:138]
	v_add_f64 v[14:15], v[117:118], -v[135:136]
	v_add_f64 v[54:55], v[74:75], v[141:142]
	v_add_f64 v[22:23], v[74:75], -v[141:142]
	v_fma_f64 v[74:75], v[105:106], s[12:13], v[107:108]
	v_add_f64 v[107:108], v[24:25], v[0:1]
	v_add_f64 v[115:116], v[30:31], v[6:7]
	;; [unrolled: 1-line block ×5, first 2 shown]
	v_add_f64 v[141:142], v[4:5], -v[0:1]
	v_fma_f64 v[135:136], v[143:144], -0.5, v[38:39]
	v_fma_f64 v[105:106], v[157:158], -0.5, v[36:37]
	;; [unrolled: 1-line block ×4, first 2 shown]
	v_add_f64 v[64:65], v[64:65], v[68:69]
	v_add_f64 v[66:67], v[66:67], v[70:71]
	v_fma_f64 v[72:73], v[72:73], -0.5, v[60:61]
	v_fma_f64 v[74:75], v[109:110], s[10:11], v[74:75]
	v_fma_f64 v[60:61], v[107:108], -0.5, v[60:61]
	v_fma_f64 v[107:108], v[115:116], -0.5, v[62:63]
	;; [unrolled: 1-line block ×3, first 2 shown]
	v_add_f64 v[109:110], v[28:29], -v[4:5]
	v_add_f64 v[115:116], v[30:31], -v[6:7]
	v_add_f64 v[117:118], v[137:138], v[28:29]
	v_add_f64 v[133:134], v[139:140], v[30:31]
	v_add_f64 v[137:138], v[24:25], -v[28:29]
	v_add_f64 v[28:29], v[28:29], -v[24:25]
	;; [unrolled: 1-line block ×6, first 2 shown]
	v_fma_f64 v[143:144], v[131:132], s[0:1], v[72:73]
	v_fma_f64 v[72:73], v[131:132], s[12:13], v[72:73]
	;; [unrolled: 1-line block ×7, first 2 shown]
	v_add_f64 v[4:5], v[117:118], v[4:5]
	v_add_f64 v[28:29], v[28:29], v[141:142]
	v_fma_f64 v[117:118], v[129:130], s[6:7], v[125:126]
	v_add_f64 v[26:27], v[26:27], v[111:112]
	v_add_f64 v[30:31], v[137:138], v[30:31]
	v_add_f64 v[137:138], v[2:3], -v[6:7]
	v_fma_f64 v[141:142], v[24:25], s[0:1], v[107:108]
	v_fma_f64 v[107:108], v[24:25], s[12:13], v[107:108]
	;; [unrolled: 1-line block ×5, first 2 shown]
	v_add_f64 v[6:7], v[133:134], v[6:7]
	v_fma_f64 v[129:130], v[56:57], s[12:13], v[135:136]
	v_fma_f64 v[133:134], v[147:148], s[0:1], v[38:39]
	v_mul_f64 v[121:122], v[74:75], s[14:15]
	v_fma_f64 v[38:39], v[147:148], s[12:13], v[38:39]
	v_fma_f64 v[111:112], v[24:25], s[10:11], v[119:120]
	;; [unrolled: 1-line block ×5, first 2 shown]
	v_add_f64 v[127:128], v[32:33], -v[68:69]
	v_add_f64 v[68:69], v[68:69], -v[32:33]
	;; [unrolled: 1-line block ×4, first 2 shown]
	v_fma_f64 v[131:132], v[159:160], s[12:13], v[36:37]
	v_add_f64 v[123:124], v[139:140], v[137:138]
	v_fma_f64 v[115:116], v[109:110], s[4:5], v[141:142]
	v_fma_f64 v[107:108], v[109:110], s[10:11], v[107:108]
	;; [unrolled: 1-line block ×6, first 2 shown]
	v_add_f64 v[32:33], v[64:65], v[32:33]
	v_fma_f64 v[133:134], v[56:57], s[10:11], v[133:134]
	v_add_f64 v[34:35], v[66:67], v[34:35]
	v_fma_f64 v[38:39], v[56:57], s[4:5], v[38:39]
	v_add_f64 v[64:65], v[4:5], v[0:1]
	v_add_f64 v[66:67], v[6:7], v[2:3]
	v_fma_f64 v[111:112], v[26:27], s[6:7], v[111:112]
	v_fma_f64 v[119:120], v[28:29], s[6:7], v[119:120]
	v_fma_f64 v[28:29], v[28:29], s[6:7], v[60:61]
	v_fma_f64 v[60:61], v[58:59], s[12:13], v[105:106]
	v_fma_f64 v[105:106], v[56:57], s[0:1], v[135:136]
	v_fma_f64 v[24:25], v[26:27], s[6:7], v[24:25]
	v_mul_f64 v[26:27], v[98:99], s[14:15]
	v_add_f64 v[62:63], v[149:150], v[62:63]
	v_add_f64 v[68:69], v[163:164], v[68:69]
	;; [unrolled: 1-line block ×3, first 2 shown]
	v_fma_f64 v[72:73], v[123:124], s[6:7], v[115:116]
	v_add_f64 v[115:116], v[161:162], v[127:128]
	v_fma_f64 v[107:108], v[123:124], s[6:7], v[107:108]
	v_mul_f64 v[123:124], v[109:110], s[14:15]
	v_mul_f64 v[109:110], v[109:110], s[10:11]
	v_fma_f64 v[127:128], v[147:148], s[10:11], v[129:130]
	v_fma_f64 v[131:132], v[58:59], s[4:5], v[131:132]
	v_fma_f64 v[98:99], v[98:99], s[4:5], -v[121:122]
	v_mul_f64 v[121:122], v[30:31], s[14:15]
	v_fma_f64 v[36:37], v[58:59], s[10:11], v[36:37]
	v_mul_f64 v[129:130], v[111:112], s[0:1]
	v_mul_f64 v[135:136], v[119:120], s[12:13]
	;; [unrolled: 1-line block ×3, first 2 shown]
	v_fma_f64 v[60:61], v[159:160], s[10:11], v[60:61]
	v_fma_f64 v[105:106], v[147:148], s[4:5], v[105:106]
	v_mul_f64 v[58:59], v[24:25], s[6:7]
	v_fma_f64 v[26:27], v[74:75], s[10:11], -v[26:27]
	v_mul_f64 v[137:138], v[72:73], s[14:15]
	v_fma_f64 v[74:75], v[107:108], s[4:5], v[123:124]
	v_fma_f64 v[107:108], v[107:108], s[14:15], v[109:110]
	v_fma_f64 v[109:110], v[115:116], s[6:7], v[125:126]
	v_fma_f64 v[123:124], v[62:63], s[6:7], v[127:128]
	v_fma_f64 v[125:126], v[68:69], s[6:7], v[131:132]
	v_fma_f64 v[127:128], v[70:71], s[6:7], v[133:134]
	v_fma_f64 v[121:122], v[72:73], s[4:5], -v[121:122]
	v_fma_f64 v[68:69], v[68:69], s[6:7], v[36:37]
	v_fma_f64 v[70:71], v[70:71], s[6:7], v[38:39]
	;; [unrolled: 1-line block ×4, first 2 shown]
	v_fma_f64 v[129:130], v[24:25], s[0:1], -v[56:57]
	v_fma_f64 v[115:116], v[115:116], s[6:7], v[60:61]
	v_fma_f64 v[105:106], v[62:63], s[6:7], v[105:106]
	v_fma_f64 v[131:132], v[28:29], s[12:13], -v[58:59]
	v_add_f64 v[0:1], v[117:118], v[98:99]
	v_add_f64 v[2:3], v[113:114], v[26:27]
	v_add_f64 v[4:5], v[117:118], -v[98:99]
	v_add_f64 v[6:7], v[113:114], -v[26:27]
	v_fma_f64 v[133:134], v[30:31], s[10:11], -v[137:138]
	v_mul_u32_u24_e32 v98, 10, v76
	v_add_f64 v[24:25], v[32:33], v[64:65]
	v_add_f64 v[26:27], v[34:35], v[66:67]
	v_cmp_gt_u32_e64 s0, 10, v76
	v_add_f64 v[28:29], v[32:33], -v[64:65]
	v_lshl_add_u32 v98, v98, 4, v103
	ds_write_b128 v98, v[40:43]
	ds_write_b128 v98, v[44:47] offset:16
	ds_write_b128 v98, v[48:51] offset:32
	;; [unrolled: 1-line block ×3, first 2 shown]
	v_add_nc_u32_e32 v41, -10, v76
	v_mul_i32_i24_e32 v40, 10, v80
	v_add_f64 v[32:33], v[109:110], v[74:75]
	v_add_f64 v[36:37], v[109:110], -v[74:75]
	v_add_f64 v[30:31], v[34:35], -v[66:67]
	v_cndmask_b32_e64 v109, v41, v76, s0
	v_add_f64 v[34:35], v[123:124], v[107:108]
	v_add_f64 v[56:57], v[125:126], v[119:120]
	;; [unrolled: 1-line block ×3, first 2 shown]
	v_add_f64 v[62:63], v[127:128], -v[111:112]
	v_add_f64 v[110:111], v[115:116], -v[121:122]
	;; [unrolled: 1-line block ×4, first 2 shown]
	v_add_f64 v[64:65], v[68:69], v[129:130]
	v_add_f64 v[66:67], v[70:71], v[131:132]
	v_add_f64 v[60:61], v[125:126], -v[119:120]
	v_add_f64 v[72:73], v[115:116], v[121:122]
	v_add_f64 v[74:75], v[105:106], v[133:134]
	v_lshl_add_u32 v108, v40, 4, v103
	v_add_f64 v[68:69], v[68:69], -v[129:130]
	v_add_f64 v[70:71], v[70:71], -v[131:132]
	ds_write_b128 v98, v[0:3] offset:64
	ds_write_b128 v98, v[8:11] offset:80
	;; [unrolled: 1-line block ×6, first 2 shown]
	ds_write_b128 v108, v[24:27]
	v_mul_i32_i24_e32 v98, 3, v109
	v_mov_b32_e32 v99, 0
	v_and_b32_e32 v2, 0xff, v80
	v_and_b32_e32 v3, 0xff, v86
	v_lshl_add_u32 v106, v82, 4, v103
	ds_write_b128 v108, v[32:35] offset:16
	v_lshlrev_b64 v[0:1], 4, v[98:99]
	v_mul_lo_u16 v2, 0xcd, v2
	ds_write_b128 v108, v[56:59] offset:32
	ds_write_b128 v108, v[64:67] offset:48
	;; [unrolled: 1-line block ×3, first 2 shown]
	v_add_co_u32 v0, s0, s8, v0
	v_add_co_ci_u32_e64 v1, s0, s9, v1, s0
	v_lshrrev_b16 v98, 11, v2
	ds_write_b128 v108, v[28:31] offset:80
	ds_write_b128 v108, v[36:39] offset:96
	ds_write_b128 v108, v[60:63] offset:112
	ds_write_b128 v108, v[68:71] offset:128
	ds_write_b128 v108, v[110:113] offset:144
	s_waitcnt lgkmcnt(0)
	s_barrier
	buffer_gl0_inv
	s_clause 0x1
	global_load_dwordx4 v[12:15], v[0:1], off offset:16
	global_load_dwordx4 v[8:11], v[0:1], off offset:32
	v_mul_lo_u16 v2, v98, 10
	global_load_dwordx4 v[4:7], v[0:1], off
	v_mov_b32_e32 v32, 3
	v_mul_lo_u16 v3, 0xcd, v3
	v_lshl_add_u32 v105, v84, 4, v103
	v_sub_nc_u16 v110, v80, v2
	v_lshl_add_u32 v107, v88, 4, v103
	v_mad_i32_i24 v108, 0xffffff70, v80, v108
	v_lshrrev_b16 v111, 11, v3
	v_cmp_lt_u32_e64 s0, 9, v76
	v_mul_u32_u24_sdwa v2, v110, v32 dst_sel:DWORD dst_unused:UNUSED_PAD src0_sel:BYTE_0 src1_sel:DWORD
	s_add_u32 s1, s8, 0x1360
	s_addc_u32 s4, s9, 0
	v_mul_lo_u16 v17, v111, 10
	s_mov_b32 s5, exec_lo
	v_lshlrev_b32_e32 v16, 4, v2
	v_sub_nc_u16 v112, v86, v17
	v_and_b32_e32 v17, 0xff, v96
	s_clause 0x2
	global_load_dwordx4 v[24:27], v16, s[8:9] offset:32
	global_load_dwordx4 v[0:3], v16, s[8:9]
	global_load_dwordx4 v[28:31], v16, s[8:9] offset:16
	v_mul_u32_u24_sdwa v16, v112, v32 dst_sel:DWORD dst_unused:UNUSED_PAD src0_sel:BYTE_0 src1_sel:DWORD
	v_lshlrev_b32_e32 v33, 4, v16
	v_mul_lo_u16 v16, 0xcd, v17
	global_load_dwordx4 v[20:23], v33, s[8:9]
	v_lshrrev_b16 v113, 11, v16
	s_clause 0x1
	global_load_dwordx4 v[16:19], v33, s[8:9] offset:16
	global_load_dwordx4 v[44:47], v33, s[8:9] offset:32
	v_mul_lo_u16 v34, v113, 10
	v_sub_nc_u16 v114, v96, v34
	v_and_b32_e32 v34, 0xff, v94
	v_mul_u32_u24_sdwa v33, v114, v32 dst_sel:DWORD dst_unused:UNUSED_PAD src0_sel:BYTE_0 src1_sel:DWORD
	v_mul_lo_u16 v34, 0xcd, v34
	v_lshlrev_b32_e32 v33, 4, v33
	v_lshrrev_b16 v116, 11, v34
	s_clause 0x2
	global_load_dwordx4 v[48:51], v33, s[8:9]
	global_load_dwordx4 v[40:43], v33, s[8:9] offset:16
	global_load_dwordx4 v[36:39], v33, s[8:9] offset:32
	v_mul_lo_u16 v34, v116, 10
	v_sub_nc_u16 v115, v94, v34
	v_mul_u32_u24_sdwa v32, v115, v32 dst_sel:DWORD dst_unused:UNUSED_PAD src0_sel:BYTE_0 src1_sel:DWORD
	v_lshlrev_b32_e32 v56, 4, v32
	s_clause 0x2
	global_load_dwordx4 v[32:35], v56, s[8:9]
	global_load_dwordx4 v[52:55], v56, s[8:9] offset:16
	global_load_dwordx4 v[56:59], v56, s[8:9] offset:32
	ds_read_b128 v[72:75], v106
	ds_read_b128 v[68:71], v102 offset:2560
	ds_read_b128 v[64:67], v102 offset:3840
	ds_read_b128 v[60:63], v105
	ds_read_b128 v[117:120], v102 offset:4864
	ds_read_b128 v[121:124], v102 offset:2816
	ds_read_b128 v[125:128], v101
	ds_read_b128 v[129:132], v102 offset:4096
	ds_read_b128 v[133:136], v107
	ds_read_b128 v[137:140], v108
	s_waitcnt vmcnt(14) lgkmcnt(8)
	v_mul_f64 v[143:144], v[70:71], v[14:15]
	v_mul_f64 v[14:15], v[68:69], v[14:15]
	s_waitcnt vmcnt(13) lgkmcnt(7)
	v_mul_f64 v[145:146], v[66:67], v[10:11]
	s_waitcnt vmcnt(12)
	v_mul_f64 v[141:142], v[74:75], v[6:7]
	v_mul_f64 v[6:7], v[72:73], v[6:7]
	;; [unrolled: 1-line block ×3, first 2 shown]
	v_fma_f64 v[143:144], v[68:69], v[12:13], -v[143:144]
	s_waitcnt vmcnt(10) lgkmcnt(6)
	v_mul_f64 v[149:150], v[62:63], v[2:3]
	v_mul_f64 v[151:152], v[60:61], v[2:3]
	s_waitcnt vmcnt(9) lgkmcnt(4)
	v_mul_f64 v[153:154], v[123:124], v[30:31]
	v_fma_f64 v[155:156], v[70:71], v[12:13], v[14:15]
	s_waitcnt lgkmcnt(2)
	v_mul_f64 v[14:15], v[131:132], v[26:27]
	v_mul_f64 v[70:71], v[129:130], v[26:27]
	v_fma_f64 v[141:142], v[72:73], v[4:5], -v[141:142]
	v_fma_f64 v[73:74], v[74:75], v[4:5], v[6:7]
	ds_read_b128 v[2:5], v102 offset:3072
	v_mul_f64 v[30:31], v[121:122], v[30:31]
	ds_read_b128 v[10:13], v102 offset:4352
	v_lshl_add_u32 v72, v86, 4, v103
	v_lshl_add_u32 v69, v92, 4, v103
	v_fma_f64 v[64:65], v[64:65], v[8:9], -v[145:146]
	v_fma_f64 v[66:67], v[66:67], v[8:9], v[147:148]
	s_waitcnt vmcnt(8) lgkmcnt(3)
	v_mul_f64 v[145:146], v[135:136], v[22:23]
	ds_read_b128 v[6:9], v72
	v_lshl_add_u32 v68, v90, 4, v103
	v_cndmask_b32_e64 v75, 0, 0x280, s0
	v_fma_f64 v[147:148], v[60:61], v[0:1], -v[149:150]
	v_fma_f64 v[149:150], v[62:63], v[0:1], v[151:152]
	v_mul_f64 v[0:1], v[133:134], v[22:23]
	v_fma_f64 v[121:122], v[121:122], v[28:29], -v[153:154]
	v_fma_f64 v[129:130], v[129:130], v[24:25], -v[14:15]
	v_fma_f64 v[131:132], v[131:132], v[24:25], v[70:71]
	ds_read_b128 v[22:25], v102 offset:3328
	s_waitcnt vmcnt(7) lgkmcnt(3)
	v_mul_f64 v[151:152], v[2:3], v[18:19]
	s_waitcnt vmcnt(6) lgkmcnt(2)
	v_mul_f64 v[153:154], v[12:13], v[46:47]
	v_mul_f64 v[46:47], v[10:11], v[46:47]
	ds_read_b128 v[60:63], v102 offset:4608
	v_fma_f64 v[30:31], v[123:124], v[28:29], v[30:31]
	ds_read_b128 v[26:29], v69
	v_mul_f64 v[123:124], v[4:5], v[18:19]
	v_lshl_add_u32 v71, v96, 4, v103
	v_fma_f64 v[133:134], v[133:134], v[20:21], -v[145:146]
	v_lshl_add_u32 v70, v94, 4, v103
	v_fma_f64 v[135:136], v[135:136], v[20:21], v[0:1]
	ds_read_b128 v[18:21], v71
	v_fma_f64 v[4:5], v[4:5], v[16:17], v[151:152]
	v_fma_f64 v[151:152], v[10:11], v[44:45], -v[153:154]
	v_fma_f64 v[44:45], v[12:13], v[44:45], v[46:47]
	s_waitcnt vmcnt(5) lgkmcnt(1)
	v_mul_f64 v[145:146], v[28:29], v[50:51]
	v_mul_f64 v[50:51], v[26:27], v[50:51]
	s_waitcnt vmcnt(4)
	v_mul_f64 v[46:47], v[24:25], v[42:43]
	v_mul_f64 v[42:43], v[22:23], v[42:43]
	s_waitcnt vmcnt(3)
	v_mul_f64 v[153:154], v[62:63], v[38:39]
	v_mul_f64 v[38:39], v[60:61], v[38:39]
	v_fma_f64 v[123:124], v[2:3], v[16:17], -v[123:124]
	ds_read_b128 v[0:3], v102 offset:3584
	ds_read_b128 v[14:17], v68
	ds_read_b128 v[10:13], v70
	s_waitcnt vmcnt(0) lgkmcnt(0)
	s_barrier
	buffer_gl0_inv
	v_add_f64 v[44:45], v[135:136], -v[44:45]
	v_fma_f64 v[26:27], v[26:27], v[48:49], -v[145:146]
	v_fma_f64 v[28:29], v[28:29], v[48:49], v[50:51]
	v_fma_f64 v[22:23], v[22:23], v[40:41], -v[46:47]
	v_fma_f64 v[24:25], v[24:25], v[40:41], v[42:43]
	v_mul_f64 v[40:41], v[2:3], v[54:55]
	v_mul_f64 v[48:49], v[16:17], v[34:35]
	;; [unrolled: 1-line block ×5, first 2 shown]
	v_fma_f64 v[50:51], v[60:61], v[36:37], -v[153:154]
	v_fma_f64 v[36:37], v[62:63], v[36:37], v[38:39]
	v_mul_f64 v[38:39], v[117:118], v[58:59]
	v_mul_u32_u24_e32 v54, 3, v76
	v_add_nc_u32_e32 v55, 0, v75
	v_lshlrev_b32_e32 v58, 4, v109
	v_and_b32_e32 v59, 0xffff, v116
	v_mov_b32_e32 v75, 4
	v_lshlrev_b32_e32 v153, 4, v54
	v_and_b32_e32 v54, 0xffff, v98
	v_add3_u32 v154, v55, v58, v104
	v_and_b32_e32 v55, 0xffff, v111
	v_and_b32_e32 v58, 0xffff, v113
	v_mad_u32_u24 v158, 0x280, v59, 0
	v_mad_u32_u24 v113, 0x280, v54, 0
	v_lshlrev_b32_sdwa v114, v75, v114 dst_sel:DWORD dst_unused:UNUSED_PAD src0_sel:DWORD src1_sel:BYTE_0
	v_mad_u32_u24 v157, 0x280, v55, 0
	v_fma_f64 v[0:1], v[0:1], v[52:53], -v[40:41]
	v_fma_f64 v[14:15], v[14:15], v[32:33], -v[48:49]
	v_fma_f64 v[16:17], v[16:17], v[32:33], v[34:35]
	v_fma_f64 v[2:3], v[2:3], v[52:53], v[42:43]
	v_fma_f64 v[32:33], v[117:118], v[56:57], -v[46:47]
	v_add_f64 v[40:41], v[125:126], -v[143:144]
	v_add_f64 v[42:43], v[127:128], -v[155:156]
	v_fma_f64 v[34:35], v[119:120], v[56:57], v[38:39]
	v_add_f64 v[38:39], v[141:142], -v[64:65]
	v_add_f64 v[46:47], v[73:74], -v[66:67]
	;; [unrolled: 1-line block ×6, first 2 shown]
	v_mad_u32_u24 v120, 0x280, v58, 0
	v_add_f64 v[58:59], v[6:7], -v[123:124]
	v_add_f64 v[64:65], v[8:9], -v[4:5]
	;; [unrolled: 1-line block ×8, first 2 shown]
	v_lshlrev_b32_sdwa v0, v75, v110 dst_sel:DWORD dst_unused:UNUSED_PAD src0_sel:DWORD src1_sel:BYTE_0
	v_lshlrev_b32_sdwa v151, v75, v112 dst_sel:DWORD dst_unused:UNUSED_PAD src0_sel:DWORD src1_sel:BYTE_0
	v_add_f64 v[121:122], v[12:13], -v[2:3]
	v_add_f64 v[60:61], v[14:15], -v[32:33]
	v_fma_f64 v[62:63], v[125:126], 2.0, -v[40:41]
	v_fma_f64 v[109:110], v[127:128], 2.0, -v[42:43]
	v_add_f64 v[32:33], v[16:17], -v[34:35]
	v_fma_f64 v[22:23], v[141:142], 2.0, -v[38:39]
	v_fma_f64 v[34:35], v[73:74], 2.0, -v[46:47]
	;; [unrolled: 1-line block ×15, first 2 shown]
	v_add3_u32 v147, v113, v0, v104
	v_add_f64 v[0:1], v[40:41], -v[46:47]
	v_fma_f64 v[141:142], v[12:13], 2.0, -v[121:122]
	v_fma_f64 v[143:144], v[14:15], 2.0, -v[60:61]
	v_add_f64 v[2:3], v[42:43], v[38:39]
	v_add_f64 v[4:5], v[48:49], -v[52:53]
	v_fma_f64 v[145:146], v[16:17], 2.0, -v[32:33]
	v_add_f64 v[8:9], v[62:63], -v[22:23]
	v_add_f64 v[10:11], v[109:110], -v[34:35]
	v_add_f64 v[6:7], v[56:57], v[30:31]
	v_add_f64 v[16:17], v[58:59], -v[44:45]
	v_add_f64 v[12:13], v[73:74], -v[36:37]
	;; [unrolled: 1-line block ×3, first 2 shown]
	v_add_f64 v[18:19], v[64:65], v[54:55]
	v_add_f64 v[24:25], v[66:67], -v[24:25]
	v_add_f64 v[22:23], v[127:128], -v[131:132]
	;; [unrolled: 1-line block ×4, first 2 shown]
	v_add_f64 v[34:35], v[121:122], v[60:61]
	v_add_f64 v[28:29], v[133:134], -v[26:27]
	v_add_f64 v[30:31], v[135:136], -v[137:138]
	v_add_f64 v[26:27], v[116:117], v[50:51]
	v_add3_u32 v124, v120, v114, v104
	v_fma_f64 v[40:41], v[40:41], 2.0, -v[0:1]
	v_mul_i32_i24_e32 v98, 3, v80
	v_add_f64 v[36:37], v[139:140], -v[143:144]
	v_fma_f64 v[42:43], v[42:43], 2.0, -v[2:3]
	v_fma_f64 v[44:45], v[48:49], 2.0, -v[4:5]
	v_add_f64 v[38:39], v[141:142], -v[145:146]
	v_fma_f64 v[48:49], v[62:63], 2.0, -v[8:9]
	v_fma_f64 v[50:51], v[109:110], 2.0, -v[10:11]
	;; [unrolled: 1-line block ×11, first 2 shown]
	v_lshlrev_b32_sdwa v75, v75, v115 dst_sel:DWORD dst_unused:UNUSED_PAD src0_sel:DWORD src1_sel:BYTE_0
	v_fma_f64 v[109:110], v[133:134], 2.0, -v[28:29]
	v_fma_f64 v[111:112], v[135:136], 2.0, -v[30:31]
	;; [unrolled: 1-line block ×4, first 2 shown]
	v_add3_u32 v123, v157, v151, v104
	v_add3_u32 v73, v158, v75, v104
	v_fma_f64 v[117:118], v[139:140], 2.0, -v[36:37]
	v_fma_f64 v[119:120], v[141:142], 2.0, -v[38:39]
	ds_write_b128 v154, v[0:3] offset:480
	ds_write_b128 v154, v[40:43] offset:160
	;; [unrolled: 1-line block ×3, first 2 shown]
	ds_write_b128 v154, v[48:51]
	ds_write_b128 v147, v[52:55]
	ds_write_b128 v147, v[44:47] offset:160
	ds_write_b128 v147, v[12:15] offset:320
	ds_write_b128 v147, v[4:7] offset:480
	ds_write_b128 v123, v[60:63]
	ds_write_b128 v123, v[56:59] offset:160
	ds_write_b128 v123, v[20:23] offset:320
	ds_write_b128 v123, v[16:19] offset:480
	;; [unrolled: 4-line block ×4, first 2 shown]
	v_lshlrev_b64 v[4:5], 4, v[98:99]
	s_waitcnt lgkmcnt(0)
	s_barrier
	buffer_gl0_inv
	s_clause 0x1
	global_load_dwordx4 v[0:3], v153, s[8:9] offset:480
	global_load_dwordx4 v[56:59], v153, s[8:9] offset:496
	v_add_co_u32 v4, s0, s8, v4
	v_add_co_ci_u32_e64 v5, s0, s9, v5, s0
	global_load_dwordx4 v[52:55], v153, s[8:9] offset:512
	v_add_nc_u32_e32 v6, -8, v76
	v_cmp_gt_u32_e64 s0, 40, v86
	s_clause 0x2
	global_load_dwordx4 v[48:51], v[4:5], off offset:480
	global_load_dwordx4 v[44:47], v[4:5], off offset:496
	;; [unrolled: 1-line block ×3, first 2 shown]
	v_cndmask_b32_e64 v73, v6, v86, s0
	v_mul_i32_i24_e32 v98, 3, v73
	v_lshlrev_b32_e32 v168, 4, v73
	v_lshlrev_b64 v[6:7], 4, v[98:99]
	v_add_co_u32 v4, s0, s8, v6
	v_add_co_ci_u32_e64 v5, s0, s9, v7, s0
	s_clause 0x8
	global_load_dwordx4 v[32:35], v[4:5], off offset:480
	global_load_dwordx4 v[28:31], v[4:5], off offset:496
	;; [unrolled: 1-line block ×3, first 2 shown]
	global_load_dwordx4 v[12:15], v153, s[8:9] offset:864
	global_load_dwordx4 v[20:23], v153, s[8:9] offset:880
	;; [unrolled: 1-line block ×6, first 2 shown]
	ds_read_b128 v[64:67], v106
	ds_read_b128 v[60:63], v102 offset:2560
	ds_read_b128 v[109:112], v102 offset:3840
	ds_read_b128 v[113:116], v105
	ds_read_b128 v[117:120], v102 offset:4864
	ds_read_b128 v[121:124], v102 offset:2816
	;; [unrolled: 1-line block ×3, first 2 shown]
	ds_read_b128 v[129:132], v101
	ds_read_b128 v[133:136], v107
	;; [unrolled: 1-line block ×3, first 2 shown]
	ds_read_b128 v[141:144], v102 offset:3072
	v_cmp_lt_u32_e64 s0, 39, v86
	s_waitcnt vmcnt(14) lgkmcnt(10)
	v_mul_f64 v[74:75], v[66:67], v[2:3]
	s_waitcnt vmcnt(13) lgkmcnt(9)
	v_mul_f64 v[98:99], v[62:63], v[58:59]
	v_mul_f64 v[58:59], v[60:61], v[58:59]
	;; [unrolled: 1-line block ×3, first 2 shown]
	s_waitcnt vmcnt(12) lgkmcnt(8)
	v_mul_f64 v[145:146], v[111:112], v[54:55]
	v_mul_f64 v[147:148], v[109:110], v[54:55]
	v_lshlrev_b64 v[54:55], 4, v[80:81]
	s_waitcnt vmcnt(11) lgkmcnt(7)
	v_mul_f64 v[149:150], v[115:116], v[50:51]
	v_mul_f64 v[151:152], v[113:114], v[50:51]
	s_waitcnt vmcnt(10) lgkmcnt(5)
	v_mul_f64 v[153:154], v[123:124], v[46:47]
	v_mul_f64 v[155:156], v[121:122], v[46:47]
	;; [unrolled: 3-line block ×3, first 2 shown]
	v_lshlrev_b64 v[46:47], 4, v[96:97]
	v_lshlrev_b64 v[50:51], 4, v[86:87]
	v_fma_f64 v[74:75], v[64:65], v[0:1], -v[74:75]
	v_fma_f64 v[159:160], v[60:61], v[56:57], -v[98:99]
	v_fma_f64 v[161:162], v[62:63], v[56:57], v[58:59]
	ds_read_b128 v[60:63], v72
	v_fma_f64 v[0:1], v[66:67], v[0:1], v[2:3]
	ds_read_b128 v[56:59], v102 offset:4352
	v_fma_f64 v[145:146], v[109:110], v[52:53], -v[145:146]
	v_fma_f64 v[52:53], v[111:112], v[52:53], v[147:148]
	ds_read_b128 v[109:112], v102 offset:4608
	s_waitcnt vmcnt(8) lgkmcnt(5)
	v_mul_f64 v[147:148], v[135:136], v[34:35]
	v_fma_f64 v[113:114], v[113:114], v[48:49], -v[149:150]
	v_fma_f64 v[48:49], v[115:116], v[48:49], v[151:152]
	v_mul_f64 v[115:116], v[133:134], v[34:35]
	v_fma_f64 v[121:122], v[121:122], v[44:45], -v[153:154]
	v_fma_f64 v[44:45], v[123:124], v[44:45], v[155:156]
	s_waitcnt vmcnt(7) lgkmcnt(3)
	v_mul_f64 v[123:124], v[143:144], v[30:31]
	v_mul_f64 v[149:150], v[141:142], v[30:31]
	ds_read_b128 v[64:67], v69
	ds_read_b128 v[96:99], v102 offset:3328
	v_fma_f64 v[127:128], v[127:128], v[40:41], v[42:43]
	v_lshlrev_b64 v[42:43], 4, v[94:95]
	v_lshlrev_b64 v[34:35], 4, v[84:85]
	;; [unrolled: 1-line block ×3, first 2 shown]
	ds_read_b128 v[85:88], v68
	v_lshlrev_b64 v[2:3], 4, v[76:77]
	s_waitcnt vmcnt(6) lgkmcnt(4)
	v_mul_f64 v[151:152], v[58:59], v[26:27]
	v_mul_f64 v[153:154], v[56:57], v[26:27]
	v_lshlrev_b64 v[26:27], 4, v[92:93]
	v_fma_f64 v[125:126], v[125:126], v[40:41], -v[157:158]
	v_cndmask_b32_e64 v77, 0, 0xa00, s0
	v_lshlrev_b64 v[40:41], 4, v[82:83]
	v_fma_f64 v[93:94], v[133:134], v[32:33], -v[147:148]
	v_add_co_u32 v147, s0, s8, v2
	v_fma_f64 v[32:33], v[135:136], v[32:33], v[115:116]
	v_add_co_ci_u32_e64 v148, s0, s9, v3, s0
	s_waitcnt vmcnt(5) lgkmcnt(2)
	v_mul_f64 v[115:116], v[66:67], v[14:15]
	v_mul_f64 v[133:134], v[64:65], v[14:15]
	v_lshlrev_b64 v[14:15], 4, v[90:91]
	ds_read_b128 v[89:92], v102 offset:3584
	v_fma_f64 v[123:124], v[141:142], v[28:29], -v[123:124]
	v_fma_f64 v[28:29], v[143:144], v[28:29], v[149:150]
	s_waitcnt vmcnt(4) lgkmcnt(2)
	v_mul_f64 v[135:136], v[98:99], v[22:23]
	v_mul_f64 v[141:142], v[96:97], v[22:23]
	s_waitcnt vmcnt(3)
	v_mul_f64 v[143:144], v[111:112], v[18:19]
	v_mul_f64 v[18:19], v[109:110], v[18:19]
	v_fma_f64 v[56:57], v[56:57], v[24:25], -v[151:152]
	v_fma_f64 v[58:59], v[58:59], v[24:25], v[153:154]
	v_add_co_u32 v149, s0, s8, v54
	ds_read_b128 v[81:84], v71
	ds_read_b128 v[22:25], v70
	v_add_co_ci_u32_e64 v150, s0, s9, v55, s0
	v_add_f64 v[44:45], v[139:140], -v[44:45]
	v_add_nc_u32_e32 v77, 0, v77
	s_waitcnt vmcnt(0) lgkmcnt(0)
	s_barrier
	v_fma_f64 v[64:65], v[64:65], v[12:13], -v[115:116]
	v_fma_f64 v[12:13], v[66:67], v[12:13], v[133:134]
	v_mul_f64 v[66:67], v[87:88], v[38:39]
	v_mul_f64 v[38:39], v[85:86], v[38:39]
	v_add_co_u32 v115, s0, s8, v50
	v_fma_f64 v[95:96], v[96:97], v[20:21], -v[135:136]
	v_fma_f64 v[20:21], v[98:99], v[20:21], v[141:142]
	v_fma_f64 v[97:98], v[109:110], v[16:17], -v[143:144]
	v_fma_f64 v[16:17], v[111:112], v[16:17], v[18:19]
	v_mul_f64 v[18:19], v[91:92], v[10:11]
	v_mul_f64 v[10:11], v[89:90], v[10:11]
	;; [unrolled: 1-line block ×4, first 2 shown]
	v_add_co_ci_u32_e64 v116, s0, s9, v51, s0
	v_add_co_u32 v99, s0, s8, v46
	v_add_co_ci_u32_e64 v151, s0, s9, v47, s0
	v_add_co_u32 v152, s0, s8, v42
	v_add_co_ci_u32_e64 v153, s0, s9, v43, s0
	v_fma_f64 v[66:67], v[85:86], v[36:37], -v[66:67]
	v_fma_f64 v[36:37], v[87:88], v[36:37], v[38:39]
	v_add_co_u32 v154, s0, s8, v40
	v_add_f64 v[38:39], v[0:1], -v[52:53]
	v_add_co_ci_u32_e64 v155, s0, s9, v41, s0
	v_add_f64 v[52:53], v[137:138], -v[121:122]
	v_fma_f64 v[18:19], v[89:90], v[8:9], -v[18:19]
	v_fma_f64 v[8:9], v[91:92], v[8:9], v[10:11]
	v_fma_f64 v[10:11], v[117:118], v[4:5], -v[109:110]
	v_fma_f64 v[4:5], v[119:120], v[4:5], v[6:7]
	v_add_f64 v[89:90], v[129:130], -v[159:160]
	v_add_f64 v[91:92], v[131:132], -v[161:162]
	;; [unrolled: 1-line block ×5, first 2 shown]
	v_add_co_u32 v156, s0, s8, v34
	v_add_co_ci_u32_e64 v157, s0, s9, v35, s0
	v_add_co_u32 v158, s0, s8, v30
	v_add_f64 v[117:118], v[60:61], -v[123:124]
	v_add_f64 v[28:29], v[62:63], -v[28:29]
	v_add_f64 v[56:57], v[93:94], -v[56:57]
	v_add_f64 v[58:59], v[32:33], -v[58:59]
	v_add_co_ci_u32_e64 v163, s0, s9, v31, s0
	v_add_co_u32 v164, s0, s8, v26
	v_add_f64 v[125:126], v[81:82], -v[95:96]
	v_add_f64 v[127:128], v[83:84], -v[20:21]
	;; [unrolled: 1-line block ×4, first 2 shown]
	v_add_co_ci_u32_e64 v165, s0, s9, v27, s0
	v_add_co_u32 v141, s0, 0x800, v147
	v_add_co_ci_u32_e64 v142, s0, 0, v148, s0
	v_add_f64 v[133:134], v[22:23], -v[18:19]
	v_add_f64 v[135:136], v[24:25], -v[8:9]
	;; [unrolled: 1-line block ×4, first 2 shown]
	v_add_co_u32 v143, s0, 0x800, v149
	v_add_co_ci_u32_e64 v144, s0, 0, v150, s0
	v_add_co_u32 v166, s0, s8, v14
	v_add_co_ci_u32_e64 v167, s0, s9, v15, s0
	;; [unrolled: 2-line block ×3, first 2 shown]
	v_fma_f64 v[115:116], v[129:130], 2.0, -v[89:90]
	v_fma_f64 v[119:120], v[131:132], 2.0, -v[91:92]
	;; [unrolled: 1-line block ×20, first 2 shown]
	v_add_f64 v[4:5], v[89:90], -v[38:39]
	v_add_f64 v[6:7], v[91:92], v[6:7]
	v_add_f64 v[8:9], v[52:53], -v[87:88]
	v_add_f64 v[10:11], v[44:45], v[85:86]
	v_add_f64 v[20:21], v[115:116], -v[18:19]
	v_add_f64 v[22:23], v[119:120], -v[0:1]
	v_add_f64 v[16:17], v[117:118], -v[58:59]
	v_add_f64 v[18:19], v[28:29], v[56:57]
	v_add_f64 v[36:37], v[73:74], -v[113:114]
	v_add_f64 v[38:39], v[121:122], -v[48:49]
	;; [unrolled: 4-line block ×4, first 2 shown]
	v_add_co_u32 v145, s0, 0x800, v99
	v_add_f64 v[85:86], v[139:140], -v[93:94]
	v_add_f64 v[87:88], v[24:25], -v[149:150]
	v_fma_f64 v[89:90], v[89:90], 2.0, -v[4:5]
	v_fma_f64 v[91:92], v[91:92], 2.0, -v[6:7]
	;; [unrolled: 1-line block ×18, first 2 shown]
	v_add_co_ci_u32_e64 v146, s0, 0, v151, s0
	v_fma_f64 v[137:138], v[139:140], 2.0, -v[85:86]
	v_fma_f64 v[139:140], v[24:25], 2.0, -v[87:88]
	v_add_co_u32 v151, s0, 0x800, v152
	v_add3_u32 v12, v77, v168, v104
	buffer_gl0_inv
	ds_write_b128 v102, v[4:7] offset:1920
	ds_write_b128 v102, v[89:92] offset:640
	;; [unrolled: 1-line block ×3, first 2 shown]
	ds_write_b128 v102, v[109:112]
	ds_write_b128 v108, v[113:116]
	ds_write_b128 v108, v[93:96] offset:640
	ds_write_b128 v108, v[36:39] offset:1280
	ds_write_b128 v108, v[8:11] offset:1920
	ds_write_b128 v12, v[121:124]
	ds_write_b128 v12, v[117:120] offset:640
	ds_write_b128 v12, v[60:63] offset:1280
	;; [unrolled: 1-line block ×11, first 2 shown]
	s_waitcnt lgkmcnt(0)
	s_barrier
	buffer_gl0_inv
	s_clause 0x1
	global_load_dwordx4 v[4:7], v[141:142], off offset:352
	global_load_dwordx4 v[8:11], v[143:144], off offset:352
	v_add_co_ci_u32_e64 v152, s0, 0, v153, s0
	v_add_co_u32 v0, s0, 0x800, v154
	v_add_co_ci_u32_e64 v1, s0, 0, v155, s0
	v_add_co_u32 v12, s0, 0x800, v156
	;; [unrolled: 2-line block ×3, first 2 shown]
	s_clause 0x1
	global_load_dwordx4 v[16:19], v[147:148], off offset:352
	global_load_dwordx4 v[20:23], v[145:146], off offset:352
	v_add_co_ci_u32_e64 v25, s0, 0, v163, s0
	v_add_co_u32 v28, s0, 0x800, v164
	v_add_co_ci_u32_e64 v29, s0, 0, v165, s0
	s_clause 0x3
	global_load_dwordx4 v[36:39], v[151:152], off offset:352
	global_load_dwordx4 v[56:59], v[0:1], off offset:352
	;; [unrolled: 1-line block ×4, first 2 shown]
	v_add_co_u32 v0, s0, 0x800, v166
	v_add_co_ci_u32_e64 v1, s0, 0, v167, s0
	s_clause 0x1
	global_load_dwordx4 v[81:84], v[28:29], off offset:352
	global_load_dwordx4 v[85:88], v[0:1], off offset:352
	ds_read_b128 v[89:92], v102 offset:2560
	ds_read_b128 v[93:96], v102 offset:2816
	;; [unrolled: 1-line block ×7, first 2 shown]
	ds_read_b128 v[129:132], v101
	ds_read_b128 v[133:136], v102 offset:4352
	ds_read_b128 v[137:140], v102 offset:4608
	ds_read_b128 v[141:144], v106
	s_waitcnt vmcnt(9) lgkmcnt(10)
	v_mul_f64 v[0:1], v[91:92], v[6:7]
	s_waitcnt vmcnt(8) lgkmcnt(9)
	v_mul_f64 v[24:25], v[95:96], v[10:11]
	v_mul_f64 v[28:29], v[93:94], v[10:11]
	ds_read_b128 v[10:13], v102 offset:4864
	v_mul_f64 v[6:7], v[89:90], v[6:7]
	s_waitcnt vmcnt(7) lgkmcnt(9)
	v_mul_f64 v[32:33], v[111:112], v[18:19]
	v_mul_f64 v[18:19], v[109:110], v[18:19]
	s_waitcnt vmcnt(6) lgkmcnt(8)
	v_mul_f64 v[44:45], v[115:116], v[22:23]
	;; [unrolled: 3-line block ×6, first 2 shown]
	v_mul_f64 v[66:67], v[133:134], v[66:67]
	v_fma_f64 v[24:25], v[93:94], v[8:9], -v[24:25]
	s_waitcnt vmcnt(1) lgkmcnt(2)
	v_mul_f64 v[149:150], v[139:140], v[83:84]
	v_mul_f64 v[83:84], v[137:138], v[83:84]
	s_waitcnt vmcnt(0) lgkmcnt(0)
	v_mul_f64 v[151:152], v[12:13], v[87:88]
	v_fma_f64 v[28:29], v[95:96], v[8:9], v[28:29]
	v_mul_f64 v[8:9], v[10:11], v[87:88]
	v_fma_f64 v[0:1], v[89:90], v[4:5], -v[0:1]
	v_fma_f64 v[147:148], v[91:92], v[4:5], v[6:7]
	v_fma_f64 v[32:33], v[109:110], v[16:17], -v[32:33]
	v_fma_f64 v[109:110], v[111:112], v[16:17], v[18:19]
	ds_read_b128 v[4:7], v108
	ds_read_b128 v[16:19], v105
	v_fma_f64 v[44:45], v[113:114], v[20:21], -v[44:45]
	v_fma_f64 v[111:112], v[115:116], v[20:21], v[22:23]
	ds_read_b128 v[20:23], v72
	ds_read_b128 v[87:90], v107
	;; [unrolled: 4-line block ×3, first 2 shown]
	v_fma_f64 v[52:53], v[121:122], v[56:57], -v[52:53]
	ds_read_b128 v[95:98], v70
	v_fma_f64 v[115:116], v[123:124], v[56:57], v[58:59]
	v_fma_f64 v[73:74], v[125:126], v[60:61], -v[73:74]
	v_fma_f64 v[119:120], v[127:128], v[60:61], v[62:63]
	v_fma_f64 v[121:122], v[133:134], v[64:65], -v[145:146]
	;; [unrolled: 2-line block ×4, first 2 shown]
	v_fma_f64 v[12:13], v[12:13], v[85:86], v[8:9]
	ds_read_b128 v[8:11], v68
	v_add_f64 v[56:57], v[129:130], -v[0:1]
	v_add_f64 v[58:59], v[131:132], -v[147:148]
	s_waitcnt lgkmcnt(7)
	v_add_f64 v[60:61], v[4:5], -v[24:25]
	v_add_f64 v[62:63], v[6:7], -v[28:29]
	s_waitcnt lgkmcnt(5)
	;; [unrolled: 3-line block ×4, first 2 shown]
	v_add_f64 v[109:110], v[95:96], -v[48:49]
	v_add_f64 v[111:112], v[97:98], -v[113:114]
	;; [unrolled: 1-line block ×12, first 2 shown]
	s_barrier
	v_fma_f64 v[129:130], v[129:130], 2.0, -v[56:57]
	v_fma_f64 v[131:132], v[131:132], 2.0, -v[58:59]
	;; [unrolled: 1-line block ×8, first 2 shown]
	buffer_gl0_inv
	v_fma_f64 v[95:96], v[95:96], 2.0, -v[109:110]
	v_fma_f64 v[97:98], v[97:98], 2.0, -v[111:112]
	;; [unrolled: 1-line block ×12, first 2 shown]
	ds_write_b128 v102, v[56:59] offset:2560
	ds_write_b128 v102, v[129:132]
	ds_write_b128 v108, v[4:7]
	ds_write_b128 v108, v[60:63] offset:2560
	ds_write_b128 v72, v[20:23]
	ds_write_b128 v72, v[64:67] offset:2560
	;; [unrolled: 2-line block ×9, first 2 shown]
	s_waitcnt lgkmcnt(0)
	s_barrier
	buffer_gl0_inv
	ds_read_b128 v[4:7], v101
	v_sub_nc_u32_e32 v12, v103, v100
                                        ; implicit-def: $vgpr0_vgpr1
                                        ; implicit-def: $vgpr8_vgpr9
                                        ; implicit-def: $vgpr10_vgpr11
	v_cmpx_ne_u32_e32 0, v76
	s_xor_b32 s5, exec_lo, s5
	s_cbranch_execz .LBB0_15
; %bb.14:
	v_add_co_u32 v0, s0, s1, v2
	v_add_co_ci_u32_e64 v1, s0, s4, v3, s0
	global_load_dwordx4 v[16:19], v[0:1], off
	ds_read_b128 v[0:3], v12 offset:5120
	s_waitcnt lgkmcnt(0)
	v_add_f64 v[8:9], v[4:5], -v[0:1]
	v_add_f64 v[10:11], v[6:7], v[2:3]
	v_add_f64 v[2:3], v[6:7], -v[2:3]
	v_add_f64 v[0:1], v[4:5], v[0:1]
	v_mul_f64 v[6:7], v[8:9], 0.5
	v_mul_f64 v[4:5], v[10:11], 0.5
	;; [unrolled: 1-line block ×3, first 2 shown]
	s_waitcnt vmcnt(0)
	v_mul_f64 v[8:9], v[6:7], v[18:19]
	v_fma_f64 v[10:11], v[4:5], v[18:19], v[2:3]
	v_fma_f64 v[2:3], v[4:5], v[18:19], -v[2:3]
	v_fma_f64 v[20:21], v[0:1], 0.5, v[8:9]
	v_fma_f64 v[0:1], v[0:1], 0.5, -v[8:9]
	v_fma_f64 v[10:11], -v[16:17], v[6:7], v[10:11]
	v_fma_f64 v[2:3], -v[16:17], v[6:7], v[2:3]
	v_fma_f64 v[8:9], v[4:5], v[16:17], v[20:21]
	v_fma_f64 v[0:1], -v[4:5], v[16:17], v[0:1]
                                        ; implicit-def: $vgpr4_vgpr5
.LBB0_15:
	s_andn2_saveexec_b32 s0, s5
	s_cbranch_execz .LBB0_17
; %bb.16:
	ds_read_b64 v[16:17], v103 offset:2568
	s_waitcnt lgkmcnt(1)
	v_add_f64 v[8:9], v[4:5], v[6:7]
	v_add_f64 v[0:1], v[4:5], -v[6:7]
	v_mov_b32_e32 v10, 0
	v_mov_b32_e32 v11, 0
	;; [unrolled: 1-line block ×4, first 2 shown]
	s_waitcnt lgkmcnt(0)
	v_xor_b32_e32 v17, 0x80000000, v17
	ds_write_b64 v103, v[16:17] offset:2568
.LBB0_17:
	s_or_b32 exec_lo, exec_lo, s0
	s_waitcnt lgkmcnt(0)
	v_add_co_u32 v4, s0, s1, v54
	v_add_co_ci_u32_e64 v5, s0, s4, v55, s0
	v_add_co_u32 v16, s0, s1, v50
	v_add_co_ci_u32_e64 v17, s0, s4, v51, s0
	global_load_dwordx4 v[4:7], v[4:5], off
	v_lshl_add_u32 v13, v80, 4, v103
	v_add_co_u32 v20, s0, s1, v46
	global_load_dwordx4 v[16:19], v[16:17], off
	ds_write2_b64 v101, v[8:9], v[10:11] offset1:1
	ds_write_b128 v12, v[0:3] offset:5120
	ds_read_b128 v[0:3], v13
	ds_read_b128 v[8:11], v12 offset:4864
	v_add_co_ci_u32_e64 v21, s0, s4, v47, s0
	global_load_dwordx4 v[20:23], v[20:21], off
	s_waitcnt lgkmcnt(0)
	v_add_f64 v[24:25], v[0:1], -v[8:9]
	v_add_f64 v[28:29], v[2:3], v[10:11]
	v_add_f64 v[2:3], v[2:3], -v[10:11]
	v_add_f64 v[0:1], v[0:1], v[8:9]
	v_mul_f64 v[10:11], v[24:25], 0.5
	v_mul_f64 v[24:25], v[28:29], 0.5
	;; [unrolled: 1-line block ×3, first 2 shown]
	s_waitcnt vmcnt(2)
	v_mul_f64 v[8:9], v[10:11], v[6:7]
	v_fma_f64 v[28:29], v[24:25], v[6:7], v[2:3]
	v_fma_f64 v[2:3], v[24:25], v[6:7], -v[2:3]
	v_fma_f64 v[6:7], v[0:1], 0.5, v[8:9]
	v_fma_f64 v[0:1], v[0:1], 0.5, -v[8:9]
	v_fma_f64 v[8:9], -v[4:5], v[10:11], v[28:29]
	v_fma_f64 v[2:3], -v[4:5], v[10:11], v[2:3]
	v_fma_f64 v[6:7], v[24:25], v[4:5], v[6:7]
	v_fma_f64 v[0:1], -v[24:25], v[4:5], v[0:1]
	ds_write2_b64 v13, v[6:7], v[8:9] offset1:1
	ds_write_b128 v12, v[0:3] offset:4864
	v_add_co_u32 v8, s0, s1, v42
	ds_read_b128 v[0:3], v72
	ds_read_b128 v[4:7], v12 offset:4608
	v_add_co_ci_u32_e64 v9, s0, s4, v43, s0
	global_load_dwordx4 v[8:11], v[8:9], off
	s_waitcnt lgkmcnt(0)
	v_add_f64 v[24:25], v[0:1], -v[4:5]
	v_add_f64 v[28:29], v[2:3], v[6:7]
	v_add_f64 v[2:3], v[2:3], -v[6:7]
	v_add_f64 v[0:1], v[0:1], v[4:5]
	v_mul_f64 v[6:7], v[24:25], 0.5
	v_mul_f64 v[24:25], v[28:29], 0.5
	v_mul_f64 v[2:3], v[2:3], 0.5
	s_waitcnt vmcnt(2)
	v_mul_f64 v[4:5], v[6:7], v[18:19]
	v_fma_f64 v[28:29], v[24:25], v[18:19], v[2:3]
	v_fma_f64 v[2:3], v[24:25], v[18:19], -v[2:3]
	v_fma_f64 v[18:19], v[0:1], 0.5, v[4:5]
	v_fma_f64 v[0:1], v[0:1], 0.5, -v[4:5]
	v_fma_f64 v[4:5], -v[16:17], v[6:7], v[28:29]
	v_fma_f64 v[2:3], -v[16:17], v[6:7], v[2:3]
	v_fma_f64 v[6:7], v[24:25], v[16:17], v[18:19]
	v_fma_f64 v[0:1], -v[24:25], v[16:17], v[0:1]
	v_add_co_u32 v16, s0, s1, v40
	v_add_co_ci_u32_e64 v17, s0, s4, v41, s0
	ds_write2_b64 v72, v[6:7], v[4:5] offset1:1
	ds_write_b128 v12, v[0:3] offset:4608
	ds_read_b128 v[0:3], v71
	ds_read_b128 v[4:7], v12 offset:4352
	global_load_dwordx4 v[16:19], v[16:17], off
	s_waitcnt lgkmcnt(0)
	v_add_f64 v[24:25], v[0:1], -v[4:5]
	v_add_f64 v[28:29], v[2:3], v[6:7]
	v_add_f64 v[2:3], v[2:3], -v[6:7]
	v_add_f64 v[0:1], v[0:1], v[4:5]
	v_mul_f64 v[6:7], v[24:25], 0.5
	v_mul_f64 v[24:25], v[28:29], 0.5
	v_mul_f64 v[2:3], v[2:3], 0.5
	s_waitcnt vmcnt(2)
	v_mul_f64 v[4:5], v[6:7], v[22:23]
	v_fma_f64 v[28:29], v[24:25], v[22:23], v[2:3]
	v_fma_f64 v[2:3], v[24:25], v[22:23], -v[2:3]
	v_fma_f64 v[22:23], v[0:1], 0.5, v[4:5]
	v_fma_f64 v[0:1], v[0:1], 0.5, -v[4:5]
	v_fma_f64 v[4:5], -v[20:21], v[6:7], v[28:29]
	v_fma_f64 v[2:3], -v[20:21], v[6:7], v[2:3]
	v_fma_f64 v[6:7], v[24:25], v[20:21], v[22:23]
	v_fma_f64 v[0:1], -v[24:25], v[20:21], v[0:1]
	v_add_co_u32 v20, s0, s1, v34
	v_add_co_ci_u32_e64 v21, s0, s4, v35, s0
	ds_write2_b64 v71, v[6:7], v[4:5] offset1:1
	ds_write_b128 v12, v[0:3] offset:4352
	ds_read_b128 v[0:3], v70
	ds_read_b128 v[4:7], v12 offset:4096
	global_load_dwordx4 v[20:23], v[20:21], off
	s_waitcnt lgkmcnt(0)
	v_add_f64 v[24:25], v[0:1], -v[4:5]
	v_add_f64 v[28:29], v[2:3], v[6:7]
	v_add_f64 v[2:3], v[2:3], -v[6:7]
	v_add_f64 v[0:1], v[0:1], v[4:5]
	v_mul_f64 v[6:7], v[24:25], 0.5
	v_mul_f64 v[24:25], v[28:29], 0.5
	v_mul_f64 v[2:3], v[2:3], 0.5
	s_waitcnt vmcnt(2)
	v_mul_f64 v[4:5], v[6:7], v[10:11]
	v_fma_f64 v[28:29], v[24:25], v[10:11], v[2:3]
	v_fma_f64 v[2:3], v[24:25], v[10:11], -v[2:3]
	v_fma_f64 v[10:11], v[0:1], 0.5, v[4:5]
	v_fma_f64 v[0:1], v[0:1], 0.5, -v[4:5]
	v_fma_f64 v[4:5], -v[8:9], v[6:7], v[28:29]
	v_fma_f64 v[2:3], -v[8:9], v[6:7], v[2:3]
	v_fma_f64 v[6:7], v[24:25], v[8:9], v[10:11]
	v_fma_f64 v[0:1], -v[24:25], v[8:9], v[0:1]
	v_add_co_u32 v8, s0, s1, v30
	v_add_co_ci_u32_e64 v9, s0, s4, v31, s0
	ds_write2_b64 v70, v[6:7], v[4:5] offset1:1
	ds_write_b128 v12, v[0:3] offset:4096
	ds_read_b128 v[0:3], v106
	ds_read_b128 v[4:7], v12 offset:3840
	global_load_dwordx4 v[8:11], v[8:9], off
	s_waitcnt lgkmcnt(0)
	v_add_f64 v[24:25], v[0:1], -v[4:5]
	v_add_f64 v[28:29], v[2:3], v[6:7]
	v_add_f64 v[2:3], v[2:3], -v[6:7]
	v_add_f64 v[0:1], v[0:1], v[4:5]
	v_mul_f64 v[6:7], v[24:25], 0.5
	v_mul_f64 v[24:25], v[28:29], 0.5
	;; [unrolled: 1-line block ×3, first 2 shown]
	s_waitcnt vmcnt(2)
	v_mul_f64 v[4:5], v[6:7], v[18:19]
	v_fma_f64 v[28:29], v[24:25], v[18:19], v[2:3]
	v_fma_f64 v[2:3], v[24:25], v[18:19], -v[2:3]
	v_fma_f64 v[18:19], v[0:1], 0.5, v[4:5]
	v_fma_f64 v[0:1], v[0:1], 0.5, -v[4:5]
	v_fma_f64 v[4:5], -v[16:17], v[6:7], v[28:29]
	v_fma_f64 v[2:3], -v[16:17], v[6:7], v[2:3]
	v_fma_f64 v[6:7], v[24:25], v[16:17], v[18:19]
	v_fma_f64 v[0:1], -v[24:25], v[16:17], v[0:1]
	v_add_co_u32 v16, s0, s1, v26
	v_add_co_ci_u32_e64 v17, s0, s4, v27, s0
	v_add_co_u32 v13, s0, s1, v14
	v_add_co_ci_u32_e64 v14, s0, s4, v15, s0
	ds_write2_b64 v106, v[6:7], v[4:5] offset1:1
	ds_write_b128 v12, v[0:3] offset:3840
	ds_read_b128 v[0:3], v105
	ds_read_b128 v[4:7], v12 offset:3584
	global_load_dwordx4 v[16:19], v[16:17], off
	s_waitcnt lgkmcnt(0)
	v_add_f64 v[24:25], v[0:1], -v[4:5]
	v_add_f64 v[26:27], v[2:3], v[6:7]
	v_add_f64 v[2:3], v[2:3], -v[6:7]
	v_add_f64 v[0:1], v[0:1], v[4:5]
	v_mul_f64 v[6:7], v[24:25], 0.5
	v_mul_f64 v[24:25], v[26:27], 0.5
	;; [unrolled: 1-line block ×3, first 2 shown]
	s_waitcnt vmcnt(2)
	v_mul_f64 v[4:5], v[6:7], v[22:23]
	v_fma_f64 v[26:27], v[24:25], v[22:23], v[2:3]
	v_fma_f64 v[2:3], v[24:25], v[22:23], -v[2:3]
	v_fma_f64 v[22:23], v[0:1], 0.5, v[4:5]
	v_fma_f64 v[0:1], v[0:1], 0.5, -v[4:5]
	v_fma_f64 v[4:5], -v[20:21], v[6:7], v[26:27]
	v_fma_f64 v[2:3], -v[20:21], v[6:7], v[2:3]
	v_fma_f64 v[6:7], v[24:25], v[20:21], v[22:23]
	v_fma_f64 v[0:1], -v[24:25], v[20:21], v[0:1]
	ds_write2_b64 v105, v[6:7], v[4:5] offset1:1
	ds_write_b128 v12, v[0:3] offset:3584
	ds_read_b128 v[0:3], v107
	ds_read_b128 v[4:7], v12 offset:3328
	global_load_dwordx4 v[20:23], v[13:14], off
	s_waitcnt lgkmcnt(0)
	v_add_f64 v[13:14], v[0:1], -v[4:5]
	v_add_f64 v[24:25], v[2:3], v[6:7]
	v_add_f64 v[2:3], v[2:3], -v[6:7]
	v_add_f64 v[0:1], v[0:1], v[4:5]
	v_mul_f64 v[6:7], v[13:14], 0.5
	v_mul_f64 v[13:14], v[24:25], 0.5
	;; [unrolled: 1-line block ×3, first 2 shown]
	s_waitcnt vmcnt(2)
	v_mul_f64 v[4:5], v[6:7], v[10:11]
	v_fma_f64 v[24:25], v[13:14], v[10:11], v[2:3]
	v_fma_f64 v[2:3], v[13:14], v[10:11], -v[2:3]
	v_fma_f64 v[10:11], v[0:1], 0.5, v[4:5]
	v_fma_f64 v[0:1], v[0:1], 0.5, -v[4:5]
	v_fma_f64 v[4:5], -v[8:9], v[6:7], v[24:25]
	v_fma_f64 v[2:3], -v[8:9], v[6:7], v[2:3]
	v_fma_f64 v[6:7], v[13:14], v[8:9], v[10:11]
	v_fma_f64 v[0:1], -v[13:14], v[8:9], v[0:1]
	ds_write2_b64 v107, v[6:7], v[4:5] offset1:1
	ds_write_b128 v12, v[0:3] offset:3328
	ds_read_b128 v[0:3], v69
	ds_read_b128 v[4:7], v12 offset:3072
	s_waitcnt lgkmcnt(0)
	v_add_f64 v[8:9], v[0:1], -v[4:5]
	v_add_f64 v[10:11], v[2:3], v[6:7]
	v_add_f64 v[2:3], v[2:3], -v[6:7]
	v_add_f64 v[0:1], v[0:1], v[4:5]
	v_mul_f64 v[6:7], v[8:9], 0.5
	v_mul_f64 v[8:9], v[10:11], 0.5
	v_mul_f64 v[2:3], v[2:3], 0.5
	s_waitcnt vmcnt(1)
	v_mul_f64 v[4:5], v[6:7], v[18:19]
	v_fma_f64 v[10:11], v[8:9], v[18:19], v[2:3]
	v_fma_f64 v[2:3], v[8:9], v[18:19], -v[2:3]
	v_fma_f64 v[13:14], v[0:1], 0.5, v[4:5]
	v_fma_f64 v[0:1], v[0:1], 0.5, -v[4:5]
	v_fma_f64 v[4:5], -v[16:17], v[6:7], v[10:11]
	v_fma_f64 v[2:3], -v[16:17], v[6:7], v[2:3]
	v_fma_f64 v[6:7], v[8:9], v[16:17], v[13:14]
	v_fma_f64 v[0:1], -v[8:9], v[16:17], v[0:1]
	ds_write2_b64 v69, v[6:7], v[4:5] offset1:1
	ds_write_b128 v12, v[0:3] offset:3072
	ds_read_b128 v[0:3], v68
	ds_read_b128 v[4:7], v12 offset:2816
	s_waitcnt lgkmcnt(0)
	v_add_f64 v[8:9], v[0:1], -v[4:5]
	v_add_f64 v[10:11], v[2:3], v[6:7]
	v_add_f64 v[2:3], v[2:3], -v[6:7]
	v_add_f64 v[0:1], v[0:1], v[4:5]
	v_mul_f64 v[6:7], v[8:9], 0.5
	v_mul_f64 v[8:9], v[10:11], 0.5
	;; [unrolled: 1-line block ×3, first 2 shown]
	s_waitcnt vmcnt(0)
	v_mul_f64 v[4:5], v[6:7], v[22:23]
	v_fma_f64 v[10:11], v[8:9], v[22:23], v[2:3]
	v_fma_f64 v[2:3], v[8:9], v[22:23], -v[2:3]
	v_fma_f64 v[13:14], v[0:1], 0.5, v[4:5]
	v_fma_f64 v[0:1], v[0:1], 0.5, -v[4:5]
	v_fma_f64 v[4:5], -v[20:21], v[6:7], v[10:11]
	v_fma_f64 v[2:3], -v[20:21], v[6:7], v[2:3]
	v_fma_f64 v[6:7], v[8:9], v[20:21], v[13:14]
	v_fma_f64 v[0:1], -v[8:9], v[20:21], v[0:1]
	ds_write2_b64 v68, v[6:7], v[4:5] offset1:1
	ds_write_b128 v12, v[0:3] offset:2816
	s_waitcnt lgkmcnt(0)
	s_barrier
	buffer_gl0_inv
	s_and_saveexec_b32 s0, vcc_lo
	s_cbranch_execz .LBB0_20
; %bb.18:
	ds_read_b128 v[2:5], v101
	ds_read_b128 v[6:9], v101 offset:256
	ds_read_b128 v[10:13], v101 offset:512
	;; [unrolled: 1-line block ×6, first 2 shown]
	v_add_co_u32 v0, vcc_lo, s2, v78
	v_add_co_ci_u32_e32 v1, vcc_lo, s3, v79, vcc_lo
	ds_read_b128 v[30:33], v101 offset:1792
	v_add_co_u32 v34, vcc_lo, v0, v100
	v_add_co_ci_u32_e32 v35, vcc_lo, 0, v1, vcc_lo
	s_waitcnt lgkmcnt(7)
	global_store_dwordx4 v[34:35], v[2:5], off
	s_waitcnt lgkmcnt(6)
	global_store_dwordx4 v[34:35], v[6:9], off offset:256
	s_waitcnt lgkmcnt(5)
	global_store_dwordx4 v[34:35], v[10:13], off offset:512
	s_waitcnt lgkmcnt(4)
	global_store_dwordx4 v[34:35], v[14:17], off offset:768
	s_waitcnt lgkmcnt(3)
	global_store_dwordx4 v[34:35], v[18:21], off offset:1024
	s_waitcnt lgkmcnt(2)
	global_store_dwordx4 v[34:35], v[22:25], off offset:1280
	ds_read_b128 v[2:5], v101 offset:2048
	ds_read_b128 v[6:9], v101 offset:2304
	;; [unrolled: 1-line block ×3, first 2 shown]
	v_or_b32_e32 v14, 0x800, v100
	v_or_b32_e32 v16, 0x900, v100
	;; [unrolled: 1-line block ×3, first 2 shown]
	s_waitcnt lgkmcnt(4)
	global_store_dwordx4 v[34:35], v[26:29], off offset:1536
	s_waitcnt lgkmcnt(3)
	global_store_dwordx4 v[34:35], v[30:33], off offset:1792
	v_add_co_u32 v14, vcc_lo, v0, v14
	v_add_co_ci_u32_e32 v15, vcc_lo, 0, v1, vcc_lo
	v_add_co_u32 v16, vcc_lo, v0, v16
	v_add_co_ci_u32_e32 v17, vcc_lo, 0, v1, vcc_lo
	;; [unrolled: 2-line block ×3, first 2 shown]
	s_waitcnt lgkmcnt(2)
	global_store_dwordx4 v[14:15], v[2:5], off
	ds_read_b128 v[2:5], v101 offset:2816
	v_or_b32_e32 v14, 0xb00, v100
	s_waitcnt lgkmcnt(2)
	global_store_dwordx4 v[16:17], v[6:9], off
	s_waitcnt lgkmcnt(1)
	global_store_dwordx4 v[18:19], v[10:13], off
	ds_read_b128 v[6:9], v101 offset:3072
	ds_read_b128 v[10:13], v101 offset:3328
	v_or_b32_e32 v24, 0xc00, v100
	v_add_co_u32 v22, vcc_lo, v0, v14
	ds_read_b128 v[14:17], v101 offset:3584
	ds_read_b128 v[18:21], v101 offset:3840
	v_or_b32_e32 v26, 0xd00, v100
	v_add_co_ci_u32_e32 v23, vcc_lo, 0, v1, vcc_lo
	v_add_co_u32 v24, vcc_lo, v0, v24
	v_or_b32_e32 v28, 0xe00, v100
	v_add_co_ci_u32_e32 v25, vcc_lo, 0, v1, vcc_lo
	v_add_co_u32 v26, vcc_lo, v0, v26
	;; [unrolled: 3-line block ×3, first 2 shown]
	v_add_co_ci_u32_e32 v29, vcc_lo, 0, v1, vcc_lo
	v_add_co_u32 v30, vcc_lo, v0, v30
	v_add_co_ci_u32_e32 v31, vcc_lo, 0, v1, vcc_lo
	s_waitcnt lgkmcnt(4)
	global_store_dwordx4 v[22:23], v[2:5], off
	s_waitcnt lgkmcnt(3)
	global_store_dwordx4 v[24:25], v[6:9], off
	;; [unrolled: 2-line block ×5, first 2 shown]
	v_or_b32_e32 v18, 0x1000, v100
	ds_read_b128 v[2:5], v101 offset:4096
	ds_read_b128 v[6:9], v101 offset:4352
	;; [unrolled: 1-line block ×4, first 2 shown]
	v_or_b32_e32 v20, 0x1100, v100
	v_or_b32_e32 v22, 0x1200, v100
	v_add_co_u32 v18, vcc_lo, v0, v18
	v_add_co_ci_u32_e32 v19, vcc_lo, 0, v1, vcc_lo
	v_add_co_u32 v20, vcc_lo, v0, v20
	v_or_b32_e32 v24, 0x1300, v100
	v_add_co_ci_u32_e32 v21, vcc_lo, 0, v1, vcc_lo
	v_add_co_u32 v22, vcc_lo, v0, v22
	v_add_co_ci_u32_e32 v23, vcc_lo, 0, v1, vcc_lo
	v_add_co_u32 v24, vcc_lo, v0, v24
	v_add_co_ci_u32_e32 v25, vcc_lo, 0, v1, vcc_lo
	v_cmp_eq_u32_e32 vcc_lo, 15, v76
	s_waitcnt lgkmcnt(3)
	global_store_dwordx4 v[18:19], v[2:5], off
	s_waitcnt lgkmcnt(2)
	global_store_dwordx4 v[20:21], v[6:9], off
	;; [unrolled: 2-line block ×4, first 2 shown]
	s_and_b32 exec_lo, exec_lo, vcc_lo
	s_cbranch_execz .LBB0_20
; %bb.19:
	ds_read_b128 v[2:5], v101 offset:4880
	v_add_co_u32 v0, vcc_lo, 0x1000, v0
	v_add_co_ci_u32_e32 v1, vcc_lo, 0, v1, vcc_lo
	s_waitcnt lgkmcnt(0)
	global_store_dwordx4 v[0:1], v[2:5], off offset:1024
.LBB0_20:
	s_endpgm
	.section	.rodata,"a",@progbits
	.p2align	6, 0x0
	.amdhsa_kernel fft_rtc_fwd_len320_factors_10_4_4_2_wgs_64_tpt_16_halfLds_dp_ip_CI_unitstride_sbrr_R2C_dirReg
		.amdhsa_group_segment_fixed_size 0
		.amdhsa_private_segment_fixed_size 0
		.amdhsa_kernarg_size 88
		.amdhsa_user_sgpr_count 6
		.amdhsa_user_sgpr_private_segment_buffer 1
		.amdhsa_user_sgpr_dispatch_ptr 0
		.amdhsa_user_sgpr_queue_ptr 0
		.amdhsa_user_sgpr_kernarg_segment_ptr 1
		.amdhsa_user_sgpr_dispatch_id 0
		.amdhsa_user_sgpr_flat_scratch_init 0
		.amdhsa_user_sgpr_private_segment_size 0
		.amdhsa_wavefront_size32 1
		.amdhsa_uses_dynamic_stack 0
		.amdhsa_system_sgpr_private_segment_wavefront_offset 0
		.amdhsa_system_sgpr_workgroup_id_x 1
		.amdhsa_system_sgpr_workgroup_id_y 0
		.amdhsa_system_sgpr_workgroup_id_z 0
		.amdhsa_system_sgpr_workgroup_info 0
		.amdhsa_system_vgpr_workitem_id 0
		.amdhsa_next_free_vgpr 171
		.amdhsa_next_free_sgpr 21
		.amdhsa_reserve_vcc 1
		.amdhsa_reserve_flat_scratch 0
		.amdhsa_float_round_mode_32 0
		.amdhsa_float_round_mode_16_64 0
		.amdhsa_float_denorm_mode_32 3
		.amdhsa_float_denorm_mode_16_64 3
		.amdhsa_dx10_clamp 1
		.amdhsa_ieee_mode 1
		.amdhsa_fp16_overflow 0
		.amdhsa_workgroup_processor_mode 1
		.amdhsa_memory_ordered 1
		.amdhsa_forward_progress 0
		.amdhsa_shared_vgpr_count 0
		.amdhsa_exception_fp_ieee_invalid_op 0
		.amdhsa_exception_fp_denorm_src 0
		.amdhsa_exception_fp_ieee_div_zero 0
		.amdhsa_exception_fp_ieee_overflow 0
		.amdhsa_exception_fp_ieee_underflow 0
		.amdhsa_exception_fp_ieee_inexact 0
		.amdhsa_exception_int_div_zero 0
	.end_amdhsa_kernel
	.text
.Lfunc_end0:
	.size	fft_rtc_fwd_len320_factors_10_4_4_2_wgs_64_tpt_16_halfLds_dp_ip_CI_unitstride_sbrr_R2C_dirReg, .Lfunc_end0-fft_rtc_fwd_len320_factors_10_4_4_2_wgs_64_tpt_16_halfLds_dp_ip_CI_unitstride_sbrr_R2C_dirReg
                                        ; -- End function
	.section	.AMDGPU.csdata,"",@progbits
; Kernel info:
; codeLenInByte = 13312
; NumSgprs: 23
; NumVgprs: 171
; ScratchSize: 0
; MemoryBound: 0
; FloatMode: 240
; IeeeMode: 1
; LDSByteSize: 0 bytes/workgroup (compile time only)
; SGPRBlocks: 2
; VGPRBlocks: 21
; NumSGPRsForWavesPerEU: 23
; NumVGPRsForWavesPerEU: 171
; Occupancy: 5
; WaveLimiterHint : 1
; COMPUTE_PGM_RSRC2:SCRATCH_EN: 0
; COMPUTE_PGM_RSRC2:USER_SGPR: 6
; COMPUTE_PGM_RSRC2:TRAP_HANDLER: 0
; COMPUTE_PGM_RSRC2:TGID_X_EN: 1
; COMPUTE_PGM_RSRC2:TGID_Y_EN: 0
; COMPUTE_PGM_RSRC2:TGID_Z_EN: 0
; COMPUTE_PGM_RSRC2:TIDIG_COMP_CNT: 0
	.text
	.p2alignl 6, 3214868480
	.fill 48, 4, 3214868480
	.type	__hip_cuid_b93fe3bff088b633,@object ; @__hip_cuid_b93fe3bff088b633
	.section	.bss,"aw",@nobits
	.globl	__hip_cuid_b93fe3bff088b633
__hip_cuid_b93fe3bff088b633:
	.byte	0                               ; 0x0
	.size	__hip_cuid_b93fe3bff088b633, 1

	.ident	"AMD clang version 19.0.0git (https://github.com/RadeonOpenCompute/llvm-project roc-6.4.0 25133 c7fe45cf4b819c5991fe208aaa96edf142730f1d)"
	.section	".note.GNU-stack","",@progbits
	.addrsig
	.addrsig_sym __hip_cuid_b93fe3bff088b633
	.amdgpu_metadata
---
amdhsa.kernels:
  - .args:
      - .actual_access:  read_only
        .address_space:  global
        .offset:         0
        .size:           8
        .value_kind:     global_buffer
      - .offset:         8
        .size:           8
        .value_kind:     by_value
      - .actual_access:  read_only
        .address_space:  global
        .offset:         16
        .size:           8
        .value_kind:     global_buffer
      - .actual_access:  read_only
        .address_space:  global
        .offset:         24
        .size:           8
        .value_kind:     global_buffer
      - .offset:         32
        .size:           8
        .value_kind:     by_value
      - .actual_access:  read_only
        .address_space:  global
        .offset:         40
        .size:           8
        .value_kind:     global_buffer
      - .actual_access:  read_only
        .address_space:  global
        .offset:         48
        .size:           8
        .value_kind:     global_buffer
      - .offset:         56
        .size:           4
        .value_kind:     by_value
      - .actual_access:  read_only
        .address_space:  global
        .offset:         64
        .size:           8
        .value_kind:     global_buffer
      - .actual_access:  read_only
        .address_space:  global
        .offset:         72
        .size:           8
        .value_kind:     global_buffer
      - .address_space:  global
        .offset:         80
        .size:           8
        .value_kind:     global_buffer
    .group_segment_fixed_size: 0
    .kernarg_segment_align: 8
    .kernarg_segment_size: 88
    .language:       OpenCL C
    .language_version:
      - 2
      - 0
    .max_flat_workgroup_size: 64
    .name:           fft_rtc_fwd_len320_factors_10_4_4_2_wgs_64_tpt_16_halfLds_dp_ip_CI_unitstride_sbrr_R2C_dirReg
    .private_segment_fixed_size: 0
    .sgpr_count:     23
    .sgpr_spill_count: 0
    .symbol:         fft_rtc_fwd_len320_factors_10_4_4_2_wgs_64_tpt_16_halfLds_dp_ip_CI_unitstride_sbrr_R2C_dirReg.kd
    .uniform_work_group_size: 1
    .uses_dynamic_stack: false
    .vgpr_count:     171
    .vgpr_spill_count: 0
    .wavefront_size: 32
    .workgroup_processor_mode: 1
amdhsa.target:   amdgcn-amd-amdhsa--gfx1030
amdhsa.version:
  - 1
  - 2
...

	.end_amdgpu_metadata
